;; amdgpu-corpus repo=ROCm/Tensile kind=harvested arch=n/a opt=n/a

/******************************************/
/* Function Prefix                        */
/******************************************/



/******************************************/
/* Begin Kernel                           */
/******************************************/

// Component.Signature.SignatureDefault
.amdgcn_target "amdgcn-amd-amdhsa--gfx942"
.text
.protected Cijk_Alik_Bljk_DB_MT128x16x32_MI16x16x4x1_SN_1LDSB1_APM1_AF0EM2_AF1EM1_AMAS3_ASE_ASGT_ASLT133_ASM_ASAE01_ASCE01_ASEM1_BL0_BS1_CLR0_DTVA0_DTVB0_ETSP_EPS0_ELFLR0_EMLL0_FSSC10_FL0_GLVWA2_GLVWB2_GRCGA1_GRPM1_GRVW2_GSU225_GSUAMB_GLS0_IU1_K1_LBSPPA256_LBSPPB256_LPA4_LPB4_LRVW2_LWPMn1_MIAV0_MKFGSU256_NTA0_NTB0_NTC3_NTD3_NEPBS8_NLCA1_NLCB1_ONLL1_PGR2_PLR9_PKA0_SIA3_SLW1_SS1_SU0_SUM0_SUS0_SPO1_SRVW0_SSO8_SVW1_TSGRA0_TSGRB0_TT2_16_TLDS1_UMLDSA1_UMLDSB1_USFGROn1_VAW1_VSn1_VW2_VWB1_VFLRP0_WSGRA0_WSGRB0_WG64_4_1_WGM18
.globl Cijk_Alik_Bljk_DB_MT128x16x32_MI16x16x4x1_SN_1LDSB1_APM1_AF0EM2_AF1EM1_AMAS3_ASE_ASGT_ASLT133_ASM_ASAE01_ASCE01_ASEM1_BL0_BS1_CLR0_DTVA0_DTVB0_ETSP_EPS0_ELFLR0_EMLL0_FSSC10_FL0_GLVWA2_GLVWB2_GRCGA1_GRPM1_GRVW2_GSU225_GSUAMB_GLS0_IU1_K1_LBSPPA256_LBSPPB256_LPA4_LPB4_LRVW2_LWPMn1_MIAV0_MKFGSU256_NTA0_NTB0_NTC3_NTD3_NEPBS8_NLCA1_NLCB1_ONLL1_PGR2_PLR9_PKA0_SIA3_SLW1_SS1_SU0_SUM0_SUS0_SPO1_SRVW0_SSO8_SVW1_TSGRA0_TSGRB0_TT2_16_TLDS1_UMLDSA1_UMLDSB1_USFGROn1_VAW1_VSn1_VW2_VWB1_VFLRP0_WSGRA0_WSGRB0_WG64_4_1_WGM18
.p2align 8
.type Cijk_Alik_Bljk_DB_MT128x16x32_MI16x16x4x1_SN_1LDSB1_APM1_AF0EM2_AF1EM1_AMAS3_ASE_ASGT_ASLT133_ASM_ASAE01_ASCE01_ASEM1_BL0_BS1_CLR0_DTVA0_DTVB0_ETSP_EPS0_ELFLR0_EMLL0_FSSC10_FL0_GLVWA2_GLVWB2_GRCGA1_GRPM1_GRVW2_GSU225_GSUAMB_GLS0_IU1_K1_LBSPPA256_LBSPPB256_LPA4_LPB4_LRVW2_LWPMn1_MIAV0_MKFGSU256_NTA0_NTB0_NTC3_NTD3_NEPBS8_NLCA1_NLCB1_ONLL1_PGR2_PLR9_PKA0_SIA3_SLW1_SS1_SU0_SUM0_SUS0_SPO1_SRVW0_SSO8_SVW1_TSGRA0_TSGRB0_TT2_16_TLDS1_UMLDSA1_UMLDSB1_USFGROn1_VAW1_VSn1_VW2_VWB1_VFLRP0_WSGRA0_WSGRB0_WG64_4_1_WGM18,@function
.section .rodata,#alloc
.p2align 6
.amdhsa_kernel Cijk_Alik_Bljk_DB_MT128x16x32_MI16x16x4x1_SN_1LDSB1_APM1_AF0EM2_AF1EM1_AMAS3_ASE_ASGT_ASLT133_ASM_ASAE01_ASCE01_ASEM1_BL0_BS1_CLR0_DTVA0_DTVB0_ETSP_EPS0_ELFLR0_EMLL0_FSSC10_FL0_GLVWA2_GLVWB2_GRCGA1_GRPM1_GRVW2_GSU225_GSUAMB_GLS0_IU1_K1_LBSPPA256_LBSPPB256_LPA4_LPB4_LRVW2_LWPMn1_MIAV0_MKFGSU256_NTA0_NTB0_NTC3_NTD3_NEPBS8_NLCA1_NLCB1_ONLL1_PGR2_PLR9_PKA0_SIA3_SLW1_SS1_SU0_SUM0_SUS0_SPO1_SRVW0_SSO8_SVW1_TSGRA0_TSGRB0_TT2_16_TLDS1_UMLDSA1_UMLDSB1_USFGROn1_VAW1_VSn1_VW2_VWB1_VFLRP0_WSGRA0_WSGRB0_WG64_4_1_WGM18
  .amdhsa_user_sgpr_kernarg_segment_ptr 1
  .amdhsa_user_sgpr_kernarg_preload_offset 0
  .amdhsa_user_sgpr_kernarg_preload_length 0
  .amdhsa_user_sgpr_count 2
  .amdhsa_accum_offset 256 // accvgpr offset
  .amdhsa_next_free_vgpr 272 // vgprs
  .amdhsa_next_free_sgpr 56 // sgprs
  .amdhsa_group_segment_fixed_size 41472 // lds bytes
  .amdhsa_private_segment_fixed_size 0
  .amdhsa_system_sgpr_workgroup_id_x 1
  .amdhsa_system_sgpr_workgroup_id_y 1
  .amdhsa_system_sgpr_workgroup_id_z 1
  .amdhsa_system_vgpr_workitem_id 0
  .amdhsa_float_denorm_mode_32 3
  .amdhsa_float_denorm_mode_16_64 3
.end_amdhsa_kernel
.text

/******************************************/
/* Optimizations and Config:              */
/******************************************/
/* ThreadTile= 8 x 1 */
/* SubGroup= 16 x 16 */
/* VectorWidthA=2 */
/* VectorWidthB=1 */
/* GlobalLoadVectorWidthA=2, GlobalLoadVectorWidthB=2 */
/* DirectToLdsA=False */
/* DirectToLdsB=False */
/* UseSgprForGRO=False */
.amdgpu_metadata
---
amdhsa.version:
  - 1
  - 1
amdhsa.target: amdgcn-amd-amdhsa--gfx942
amdhsa.kernels:
  - .name: Cijk_Alik_Bljk_DB_MT128x16x32_MI16x16x4x1_SN_1LDSB1_APM1_AF0EM2_AF1EM1_AMAS3_ASE_ASGT_ASLT133_ASM_ASAE01_ASCE01_ASEM1_BL0_BS1_CLR0_DTVA0_DTVB0_ETSP_EPS0_ELFLR0_EMLL0_FSSC10_FL0_GLVWA2_GLVWB2_GRCGA1_GRPM1_GRVW2_GSU225_GSUAMB_GLS0_IU1_K1_LBSPPA256_LBSPPB256_LPA4_LPB4_LRVW2_LWPMn1_MIAV0_MKFGSU256_NTA0_NTB0_NTC3_NTD3_NEPBS8_NLCA1_NLCB1_ONLL1_PGR2_PLR9_PKA0_SIA3_SLW1_SS1_SU0_SUM0_SUS0_SPO1_SRVW0_SSO8_SVW1_TSGRA0_TSGRB0_TT2_16_TLDS1_UMLDSA1_UMLDSB1_USFGROn1_VAW1_VSn1_VW2_VWB1_VFLRP0_WSGRA0_WSGRB0_WG64_4_1_WGM18
    .symbol: 'Cijk_Alik_Bljk_DB_MT128x16x32_MI16x16x4x1_SN_1LDSB1_APM1_AF0EM2_AF1EM1_AMAS3_ASE_ASGT_ASLT133_ASM_ASAE01_ASCE01_ASEM1_BL0_BS1_CLR0_DTVA0_DTVB0_ETSP_EPS0_ELFLR0_EMLL0_FSSC10_FL0_GLVWA2_GLVWB2_GRCGA1_GRPM1_GRVW2_GSU225_GSUAMB_GLS0_IU1_K1_LBSPPA256_LBSPPB256_LPA4_LPB4_LRVW2_LWPMn1_MIAV0_MKFGSU256_NTA0_NTB0_NTC3_NTD3_NEPBS8_NLCA1_NLCB1_ONLL1_PGR2_PLR9_PKA0_SIA3_SLW1_SS1_SU0_SUM0_SUS0_SPO1_SRVW0_SSO8_SVW1_TSGRA0_TSGRB0_TT2_16_TLDS1_UMLDSA1_UMLDSB1_USFGROn1_VAW1_VSn1_VW2_VWB1_VFLRP0_WSGRA0_WSGRB0_WG64_4_1_WGM18.kd'
    .language:                   OpenCL C
    .language_version:
      - 2
      - 0
    .args:
      - .name:            Tensor2dSizeA
        .size:            8
        .offset:          0
        .value_kind:      by_value
        .value_type:      u64
      - .name:            Tensor2dSizeB
        .size:            8
        .offset:          8
        .value_kind:      by_value
        .value_type:      u64
      - .name:            AddressD
        .size:            8
        .offset:          16
        .value_kind:      by_value
        .value_type:      u64
      - .name:            AddressC
        .size:            8
        .offset:          24
        .value_kind:      by_value
        .value_type:      u64
      - .name:            AddressA
        .size:            8
        .offset:          32
        .value_kind:      by_value
        .value_type:      u64
      - .name:            AddressB
        .size:            8
        .offset:          40
        .value_kind:      by_value
        .value_type:      u64
      - .name:            Alpha
        .size:            8
        .offset:          48
        .value_kind:      by_value
        .value_type:      u64
      - .name:            Beta
        .size:            8
        .offset:          56
        .value_kind:      by_value
        .value_type:      u64
      - .name:            StridesD
        .size:            8
        .offset:          64
        .value_kind:      by_value
        .value_type:      u64
      - .name:            StridesC
        .size:            8
        .offset:          72
        .value_kind:      by_value
        .value_type:      u64
      - .name:            StridesA
        .size:            8
        .offset:          80
        .value_kind:      by_value
        .value_type:      u64
      - .name:            StridesB
        .size:            8
        .offset:          88
        .value_kind:      by_value
        .value_type:      u64
      - .name:            SizesFree
        .size:            12
        .offset:          96
        .value_kind:      by_value
        .value_type:      u96
      - .name:            SizesSum
        .size:            4
        .offset:          108
        .value_kind:      by_value
        .value_type:      u32
      - .name:            NumWorkGroups0
        .size:            4
        .offset:          112
        .value_kind:      by_value
        .value_type:      u32
      - .name:            NumWorkGroups1
        .size:            4
        .offset:          116
        .value_kind:      by_value
        .value_type:      u32
      - .name:            NumFullBlocks
        .size:            4
        .offset:          120
        .value_kind:      by_value
        .value_type:      u32
      - .name:            WgmRemainder1
        .size:            4
        .offset:          124
        .value_kind:      by_value
        .value_type:      u32
      - .name:            MagicNumberWgmRemainder1
        .size:            4
        .offset:          128
        .value_kind:      by_value
        .value_type:      u32
    .group_segment_fixed_size:   41472
    .kernarg_segment_align:      8
    .kernarg_segment_size:       136
    .max_flat_workgroup_size:    256
    .private_segment_fixed_size: 0
    .sgpr_count:                 56
    .sgpr_spill_count:           0
    .vgpr_count:                 256
    .vgpr_spill_count:           0
    .wavefront_size:             64
...
.end_amdgpu_metadata
Cijk_Alik_Bljk_DB_MT128x16x32_MI16x16x4x1_SN_1LDSB1_APM1_AF0EM2_AF1EM1_AMAS3_ASE_ASGT_ASLT133_ASM_ASAE01_ASCE01_ASEM1_BL0_BS1_CLR0_DTVA0_DTVB0_ETSP_EPS0_ELFLR0_EMLL0_FSSC10_FL0_GLVWA2_GLVWB2_GRCGA1_GRPM1_GRVW2_GSU225_GSUAMB_GLS0_IU1_K1_LBSPPA256_LBSPPB256_LPA4_LPB4_LRVW2_LWPMn1_MIAV0_MKFGSU256_NTA0_NTB0_NTC3_NTD3_NEPBS8_NLCA1_NLCB1_ONLL1_PGR2_PLR9_PKA0_SIA3_SLW1_SS1_SU0_SUM0_SUS0_SPO1_SRVW0_SSO8_SVW1_TSGRA0_TSGRB0_TT2_16_TLDS1_UMLDSA1_UMLDSB1_USFGROn1_VAW1_VSn1_VW2_VWB1_VFLRP0_WSGRA0_WSGRB0_WG64_4_1_WGM18:

/******************************************/
/* Asm syntax workarounds                 */
/******************************************/
.macro _v_add_co_u32 dst:req, cc:req, src0:req, src1:req, dpp=
   v_add_co_u32 \dst, \cc, \src0, \src1 \dpp
.endm

.macro _v_add_u32 dst:req, src0:req, src1:req, dpp=
   v_add_u32 \dst, \src0, \src1 \dpp
.endm

.macro _v_add_i32 dst:req, src0:req, src1:req, dpp=
   v_add_i32 \dst, \src0, \src1 \dpp
.endm

.macro _v_addc_co_u32 dst:req, ccOut:req, src0:req, ccIn:req, src1:req, dpp=
   v_addc_co_u32 \dst, \ccOut, \src0, \ccIn, \src1 \dpp
.endm

.macro _v_sub_co_u32 dst:req, cc:req, src0:req, src1:req, dpp=
   v_sub_co_u32 \dst, \cc, \src0, \src1 \dpp
.endm

.macro _v_sub_u32 dst:req, src0:req, src1:req, dpp=
   v_sub_u32 \dst, \src0, \src1 \dpp
.endm

.macro _v_sub_i32 dst:req, src0:req, src1:req, dpp=
   v_sub_i32 \dst, \src0, \src1 \dpp
.endm

.macro _v_add_lshl_u32 dst:req, src0:req, src1:req, shiftCnt:req
    v_add_lshl_u32 \dst, \src0, \src1, \shiftCnt
.endm

.macro _v_lshl_add_u32 dst:req, src0:req, src1:req, shiftCnt:req
    v_lshl_add_u32 \dst, \src0, \src1, \shiftCnt
.endm

.macro _v_lshl_or_b32 dst:req, src0:req, shiftCnt:req, src1:req
    v_lshl_or_b32 \dst, \src0, \shiftCnt, \src1
.endm

.macro _v_dot2acc_f32_f16 dst, src0, src1
v_dot2c_f32_f16 \dst, \src0, \src1
.endm

.macro _v_cmpx_lt_i16 dst, src0, src1=
   v_cmpx_lt_i16 \dst, \src0, \src1 
.endm

.macro _v_cmpx_lt_i32 dst, src0, src1=
   v_cmpx_lt_i32 \dst, \src0, \src1 
.endm

.macro _v_cmpx_lt_i64 dst, src0, src1=
   v_cmpx_lt_i64 \dst, \src0, \src1 
.endm

.macro _v_cmpx_lt_u16 dst, src0, src1=
   v_cmpx_lt_u16 \dst, \src0, \src1 
.endm

.macro _v_cmpx_lt_u32 dst, src0, src1=
   v_cmpx_lt_u32 \dst, \src0, \src1 
.endm

.macro _v_cmpx_lt_u64 dst, src0, src1=
   v_cmpx_lt_u64 \dst, \src0, \src1 
.endm

.macro _v_cmpx_eq_i16 dst, src0, src1=
   v_cmpx_eq_i16 \dst, \src0, \src1 
.endm

.macro _v_cmpx_eq_i32 dst, src0, src1=
   v_cmpx_eq_i32 \dst, \src0, \src1 
.endm

.macro _v_cmpx_eq_i64 dst, src0, src1=
   v_cmpx_eq_i64 \dst, \src0, \src1 
.endm

.macro _v_cmpx_eq_u16 dst, src0, src1=
   v_cmpx_eq_u16 \dst, \src0, \src1 
.endm

.macro _v_cmpx_eq_u32 dst, src0, src1=
   v_cmpx_eq_u32 \dst, \src0, \src1 
.endm

.macro _v_cmpx_eq_u64 dst, src0, src1=
   v_cmpx_eq_u64 \dst, \src0, \src1 
.endm

.macro _v_cmpx_le_i16 dst, src0, src1=
   v_cmpx_le_i16 \dst, \src0, \src1 
.endm

.macro _v_cmpx_le_i32 dst, src0, src1=
   v_cmpx_le_i32 \dst, \src0, \src1 
.endm

.macro _v_cmpx_le_i64 dst, src0, src1=
   v_cmpx_le_i64 \dst, \src0, \src1 
.endm

.macro _v_cmpx_le_u16 dst, src0, src1=
   v_cmpx_le_u16 \dst, \src0, \src1 
.endm

.macro _v_cmpx_le_u32 dst, src0, src1=
   v_cmpx_le_u32 \dst, \src0, \src1 
.endm

.macro _v_cmpx_le_u64 dst, src0, src1=
   v_cmpx_le_u64 \dst, \src0, \src1 
.endm

.macro _v_cmpx_gt_i16 dst, src0, src1=
   v_cmpx_gt_i16 \dst, \src0, \src1 
.endm

.macro _v_cmpx_gt_i32 dst, src0, src1=
   v_cmpx_gt_i32 \dst, \src0, \src1 
.endm

.macro _v_cmpx_gt_i64 dst, src0, src1=
   v_cmpx_gt_i64 \dst, \src0, \src1 
.endm

.macro _v_cmpx_gt_u16 dst, src0, src1=
   v_cmpx_gt_u16 \dst, \src0, \src1 
.endm

.macro _v_cmpx_gt_u32 dst, src0, src1=
   v_cmpx_gt_u32 \dst, \src0, \src1 
.endm

.macro _v_cmpx_gt_u64 dst, src0, src1=
   v_cmpx_gt_u64 \dst, \src0, \src1 
.endm

.macro _v_cmpx_ne_i16 dst, src0, src1=
   v_cmpx_ne_i16 \dst, \src0, \src1 
.endm

.macro _v_cmpx_ne_i32 dst, src0, src1=
   v_cmpx_ne_i32 \dst, \src0, \src1 
.endm

.macro _v_cmpx_ne_i64 dst, src0, src1=
   v_cmpx_ne_i64 \dst, \src0, \src1 
.endm

.macro _v_cmpx_ne_u16 dst, src0, src1=
   v_cmpx_ne_u16 \dst, \src0, \src1 
.endm

.macro _v_cmpx_ne_u32 dst, src0, src1=
   v_cmpx_ne_u32 \dst, \src0, \src1 
.endm

.macro _v_cmpx_ne_u64 dst, src0, src1=
   v_cmpx_ne_u64 \dst, \src0, \src1 
.endm

.macro _v_cmpx_lg_i16 dst, src0, src1=
   v_cmpx_lg_i16 \dst, \src0, \src1 
.endm

.macro _v_cmpx_lg_i32 dst, src0, src1=
   v_cmpx_lg_i32 \dst, \src0, \src1 
.endm

.macro _v_cmpx_lg_i64 dst, src0, src1=
   v_cmpx_lg_i64 \dst, \src0, \src1 
.endm

.macro _v_cmpx_lg_u16 dst, src0, src1=
   v_cmpx_lg_u16 \dst, \src0, \src1 
.endm

.macro _v_cmpx_lg_u32 dst, src0, src1=
   v_cmpx_lg_u32 \dst, \src0, \src1 
.endm

.macro _v_cmpx_lg_u64 dst, src0, src1=
   v_cmpx_lg_u64 \dst, \src0, \src1 
.endm

.macro _v_cmpx_ge_i16 dst, src0, src1=
   v_cmpx_ge_i16 \dst, \src0, \src1 
.endm

.macro _v_cmpx_ge_i32 dst, src0, src1=
   v_cmpx_ge_i32 \dst, \src0, \src1 
.endm

.macro _v_cmpx_ge_i64 dst, src0, src1=
   v_cmpx_ge_i64 \dst, \src0, \src1 
.endm

.macro _v_cmpx_ge_u16 dst, src0, src1=
   v_cmpx_ge_u16 \dst, \src0, \src1 
.endm

.macro _v_cmpx_ge_u32 dst, src0, src1=
   v_cmpx_ge_u32 \dst, \src0, \src1 
.endm

.macro _v_cmpx_ge_u64 dst, src0, src1=
   v_cmpx_ge_u64 \dst, \src0, \src1 
.endm

.macro _v_cmpx_o_i16 dst, src0, src1=
   v_cmpx_o_i16 \dst, \src0, \src1 
.endm

.macro _v_cmpx_o_i32 dst, src0, src1=
   v_cmpx_o_i32 \dst, \src0, \src1 
.endm

.macro _v_cmpx_o_i64 dst, src0, src1=
   v_cmpx_o_i64 \dst, \src0, \src1 
.endm

.macro _v_cmpx_o_u16 dst, src0, src1=
   v_cmpx_o_u16 \dst, \src0, \src1 
.endm

.macro _v_cmpx_o_u32 dst, src0, src1=
   v_cmpx_o_u32 \dst, \src0, \src1 
.endm

.macro _v_cmpx_o_u64 dst, src0, src1=
   v_cmpx_o_u64 \dst, \src0, \src1 
.endm

.macro _v_cmpx_u_i16 dst, src0, src1=
   v_cmpx_u_i16 \dst, \src0, \src1 
.endm

.macro _v_cmpx_u_i32 dst, src0, src1=
   v_cmpx_u_i32 \dst, \src0, \src1 
.endm

.macro _v_cmpx_u_i64 dst, src0, src1=
   v_cmpx_u_i64 \dst, \src0, \src1 
.endm

.macro _v_cmpx_u_u16 dst, src0, src1=
   v_cmpx_u_u16 \dst, \src0, \src1 
.endm

.macro _v_cmpx_u_u32 dst, src0, src1=
   v_cmpx_u_u32 \dst, \src0, \src1 
.endm

.macro _v_cmpx_u_u64 dst, src0, src1=
   v_cmpx_u_u64 \dst, \src0, \src1 
.endm
.macro _v_mac_f32 c:req, a:req, b:req
    v_fmac_f32 \c, \a, \b
.endmacro

/* scale global load macros */
.macro _s_load_b32 dst base offset
    s_load_dword \dst \base \offset
.endm

.macro _s_load_b64 dst base offset
    s_load_dwordx2 \dst \base \offset
.endm

.macro _s_load_b128 dst base offset
    s_load_dwordx4 \dst \base \offset
.endm

.macro _s_load_b256 dst base offset
    s_load_dwordx8 \dst \base \offset
.endm

.macro _s_load_b512 dst base offset
    s_load_dwordx16 \dst \base \offset
.endm


/* ds operation macros */
.macro _ds_load_u8 dst src offset
    ds_read_u8 \dst \src \offset
.endm

.macro _ds_load_u8_d16_hi dst src offset
    ds_read_u8_d16_hi \dst \src \offset
.endm

.macro _ds_load_u16 dst src offset
    ds_read_u16 \dst \src \offset
.endm

.macro _ds_load_u16_d16_hi dst src offset
    ds_read_u16_d16_hi \dst \src \offset
.endm

.macro _ds_load_b32 dst src offset
    ds_read_b32 \dst \src \offset
.endm

.macro _ds_load_b64 dst src offset
    ds_read_b64 \dst \src \offset
.endm

.macro _ds_load_b128 dst src offset
    ds_read_b128 \dst \src \offset
.endm

.macro _ds_store_b8 dst src offset
    ds_write_b8 \dst \src \offset
.endm

.macro _ds_store_b8_d16_hi dst src offset
    ds_write_b8_d16_hi \dst \src \offset
.endm

.macro _ds_store_b16 dst src offset
    ds_write_b16 \dst \src \offset
.endm

.macro _ds_store_b16_d16_hi dst src offset
    ds_write_b16_d16_hi \dst \src \offset
.endm

.macro _ds_store_b32 dst src offset
    ds_write_b32 \dst \src \offset
.endm

.macro _ds_store_b64 dst src offset
    ds_write_b64 \dst \src \offset
.endm

.macro _ds_store_b128 dst src offset
    ds_write_b128 \dst \src \offset
.endm

.macro _ds_load2_b32 dst src offset1 offset2
    ds_read2_b32 \dst \src \offset1 \offset2
.endm

.macro _ds_load2_b64 dst src offset1 offset2
    ds_read2_b64 \dst \src \offset1 \offset2
.endm

.macro _ds_store2_b32 dst src offset1 offset2
    ds_write2_b32 \dst \src \offset1 \offset2
.endm

.macro _ds_store2_b64 dst src offset1 offset2
    ds_write2_b64 \dst \src \offset1 \offset2
.endm


/* buffer memory operation macros */
.macro _buffer_load_b32 dst voffset base soffset offen ioffset md0 md1 md2
    buffer_load_dword \dst \voffset \base \soffset \offen \ioffset \md0 \md1 \md2
.endm

.macro _buffer_load_b64 dst voffset base soffset offen ioffset md0 md1 md2
    buffer_load_dwordx2 \dst \voffset \base \soffset \offen \ioffset \md0 \md1 \md2
.endm

.macro _buffer_load_b96 dst voffset base soffset offen ioffset md0 md1 md2
    buffer_load_dwordx3 \dst \voffset \base \soffset \offen \ioffset \md0 \md1 \md2
.endm

.macro _buffer_load_b128 dst voffset base soffset offen ioffset md0 md1 md2
    buffer_load_dwordx4 \dst \voffset \base \soffset \offen \ioffset \md0 \md1 \md2
.endm

.macro _buffer_load_d16_b16 dst voffset base soffset offen ioffset md0 md1 md2
    buffer_load_short_d16 \dst \voffset \base \soffset \offen \ioffset \md0 \md1 \md2
.endm

.macro _buffer_load_d16_hi_b16 dst voffset base soffset offen ioffset md0 md1 md2
    buffer_load_short_d16_hi \dst \voffset \base \soffset \offen \ioffset \md0 \md1 \md2
.endm

.macro _buffer_load_d16_u8 dst voffset base soffset offen ioffset md0 md1 md2
    buffer_load_ubyte_d16 \dst \voffset \base \soffset \offen \ioffset \md0 \md1 \md2
.endm

.macro _buffer_load_d16_hi_u8 dst voffset base soffset offen ioffset md0 md1 md2
    buffer_load_ubyte_d16_hi \dst \voffset \base \soffset \offen \ioffset \md0 \md1 \md2
.endm

.macro _buffer_load_u16 dst voffset base soffset offen ioffset md0 md1 md2
    buffer_load_ushort \dst \voffset \base \soffset \offen \ioffset \md0 \md1 \md2
.endm

.macro _buffer_load_b32_dtl voffset base soffset offen ioffset md0 md1 md2
    buffer_load_dword \voffset \base \soffset \offen \ioffset \md0 \md1 \md2
.endm

.macro _buffer_load_b64_dtl voffset base soffset offen ioffset md0 md1 md2
    buffer_load_dwordx2 \voffset \base \soffset \offen \ioffset \md0 \md1 \md2
.endm

.macro _buffer_load_b128_dtl voffset base soffset offen ioffset md0 md1 md2
    buffer_load_dwordx4 \voffset \base \soffset \offen \ioffset \md0 \md1 \md2
.endm

.macro _buffer_load_u16_dtl voffset base soffset offen ioffset md0 md1 md2
    buffer_load_ushort \voffset \base \soffset \offen \ioffset \md0 \md1 \md2
.endm

.macro _buffer_store_b32 src voffset base soffset offen ioffset md0 md1 md2
    buffer_store_dword \src \voffset \base \soffset \offen \ioffset \md0 \md1 \md2
.endm

.macro _buffer_store_b64 src voffset base soffset offen ioffset md0 md1 md2
    buffer_store_dwordx2 \src \voffset \base \soffset \offen \ioffset \md0 \md1 \md2
.endm

.macro _buffer_store_b96 src voffset base soffset offen ioffset md0 md1 md2
    buffer_store_dwordx3 \src \voffset \base \soffset \offen \ioffset \md0 \md1 \md2
.endm

.macro _buffer_store_b128 src voffset base soffset offen ioffset md0 md1 md2
    buffer_store_dwordx4 \src \voffset \base \soffset \offen \ioffset \md0 \md1 \md2
.endm

.macro _buffer_store_b16 src voffset base soffset offen ioffset md0 md1 md2
    buffer_store_short \src \voffset \base \soffset \offen \ioffset \md0 \md1 \md2
.endm

.macro _buffer_store_d16_hi_b16 src voffset base soffset offen ioffset md0 md1 md2
    buffer_store_short_d16_hi \src \voffset \base \soffset \offen \ioffset \md0 \md1 \md2
.endm

.macro _buffer_store_b8 src voffset base soffset offen ioffset md0 md1 md2
    buffer_store_byte \src \voffset \base \soffset \offen \ioffset \md0 \md1 \md2
.endm

.macro _buffer_store_d16_hi_b8 src voffset base soffset offen ioffset md0 md1 md2
    buffer_store_byte_d16_hi \src \voffset \base \soffset \offen \ioffset \md0 \md1 \md2
.endm

.macro _buffer_atomic_cmpswap_b32 dst voffset base soffset offen ioffset md0 md1 md2
    buffer_atomic_cmpswap \dst \voffset \base \soffset \offen \ioffset \md0 \md1 \md2
.endm

.macro _buffer_atomic_cmpswap_b64 dst voffset base soffset offen ioffset md0 md1 md2
    buffer_atomic_cmpswap_x2 \dst \voffset \base \soffset \offen \ioffset \md0 \md1 \md2
.endm


/* buffer memory operation macros */
.macro _global_load_b32 dst base src ioffset md0 md1 md2
    global_load_dword \dst \base \src \ioffset \md0 \md1 \md2
.endm

.macro _global_load_b64 dst base src ioffset md0 md1 md2
    global_load_dwordx2 \dst \base \src \ioffset \md0 \md1 \md2
.endm

.macro _global_load_b96 dst base src ioffset md0 md1 md2
    global_load_dwordx3 \dst \base \src \ioffset \md0 \md1 \md2
.endm

.macro _global_load_b128 dst base src ioffset md0 md1 md2
    global_load_dwordx4 \dst \base \src \ioffset \md0 \md1 \md2
.endm

.macro _global_load_d16_b16 dst base src ioffset md0 md1 md2
    global_load_short_d16 \dst \base \src \ioffset \md0 \md1 \md2
.endm

.macro _global_load_d16_hi_b16 dst base src ioffset md0 md1 md2
    global_load_short_d16_hi \dst \base \src \ioffset \md0 \md1 \md2
.endm

.macro _global_load_d16_u8 dst base src ioffset md0 md1 md2
    global_load_ubyte_d16 \dst \base \src \ioffset \md0 \md1 \md2
.endm

.macro _global_load_d16_hi_u8 dst base src ioffset md0 md1 md2
    global_load_ubyte_d16_hi \dst \base \src \ioffset \md0 \md1 \md2
.endm

.macro _global_load_u16 dst base src ioffset md0 md1 md2
    global_load_ushort \dst \base \src \ioffset \md0 \md1 \md2
.endm

.macro _global_store_b32 base src src2 md0 md1 md2
    global_store_dword \base \src \src2 \md0 \md1 \md2
.endm

.macro _global_store_b64 base src src2 md0 md1 md2
    global_store_dwordx2 \base \src \src2 \md0 \md1 \md2
.endm

.macro _global_store_b96 base src src2 md0 md1 md2
    global_store_dwordx3 \base \src \src2 \md0 \md1 \md2
.endm

.macro _global_store_b128 base src src2 md0 md1 md2
    global_store_dwordx4 \base \src \src2 \md0 \md1 \md2
.endm

.macro _global_store_d16_b16 base src src2 md0 md1 md2
    global_store_short \base \src \src2 \md0 \md1 \md2
.endm

.macro _global_store_d16_hi_b16 base src src2 md0 md1 md2
    global_store_short_d16_hi \base \src \src2 \md0 \md1 \md2
.endm

.macro _global_store_d16_u8 base src src2 md0 md1 md2
    global_store_ubyte_d16 \base \src \src2 \md0 \md1 \md2
.endm

.macro _global_store_d16_hi_u8 base src src2 md0 md1 md2
    global_store_ubyte_d16_hi \base \src \src2 \md0 \md1 \md2
.endm

.macro _global_store_u16 base src src2 md0 md1 md2
    global_store_ushort \base \src \src2 \md0 \md1 \md2
.endm

.macro _global_atomic_cmpswap_b32 tmp base data src ioffset md
    global_atomic_cmpswap \tmp \base \data \src \ioffset \md
.endm

.macro _global_atomic_cmpswap_b64 tmp base data src ioffset md
    global_atomic_cmpswap_x2 \tmp \base \data \src \ioffset \md
.endm


/******************************************/
/* Magic div and mod functions            */
/******************************************/
.macro V_MAGIC_DIV dstIdx:req, dividend:req, magicNumber:req, magicShift:req, magicA:req
    v_mul_hi_u32 v[\dstIdx+1], \dividend, \magicNumber
    v_mul_lo_u32 v[\dstIdx+0], \dividend, \magicA
    _v_add_u32 v[\dstIdx+0], v[\dstIdx+0], v[\dstIdx+1]
    v_lshrrev_b32 v[\dstIdx+0], \magicShift, v[\dstIdx+0]
.endm

/******************************************/
/* VGPR Assignments                       */
/******************************************/
/* ValuC range: [0-0), serializedStore enabled */
.set vgprValuC, 0
/* ValuA/B   Xn=PLR buffer idx,  In=InnerUnroll idx */
.set vgprValuA_X0_I0, 0
.set vgprValuA_X1_I0, 4
.set vgprValuA_X2_I0, 8
.set vgprValuA_X3_I0, 12
.set vgprValuA_X4_I0, 16
.set vgprValuA_X5_I0, 20
.set vgprValuA_X6_I0, 24
.set vgprValuA_X7_I0, 28
.set vgprG2LA, 72
.set vgprValuB_X0_I0, 32
.set vgprValuB_X1_I0, 34
.set vgprValuB_X2_I0, 36
.set vgprValuB_X3_I0, 38
.set vgprValuB_X4_I0, 40
.set vgprValuB_X5_I0, 42
.set vgprValuB_X6_I0, 44
.set vgprValuB_X7_I0, 46
.set vgprG2LB, 104
.set vgprLocalWriteAddrA, 48
.set vgprLocalWriteAddrB, 49
.set vgprGlobalReadAddrA, 50
.set vgprGlobalReadAddrB, 66
.set vgprGlobalReadIncsA, 68
.set vgprGlobalReadIncsB, 70
.set vgprLocalReadAddrA, 108
.set vgprLocalReadAddrB, 109
.set vgprSerial, 110
/* Num VGPR=256 */
/* Num AccVGPR=16 */

/******************************************/
/* SGPR Assignments                       */
/******************************************/
.set sgprKernArgAddress, 0 // (2)
.set sgprWorkGroup0, 2 // (1)
.set sgprWorkGroup1, 3 // (1)
.set sgprWorkGroup2, 4 // (1)
.set sgprGSUSumIdx, 5 // (2)
.set sgprLoopCounterL, 7 // (1)
.set sgprOrigLoopCounter, 8 // (1)
.set sgprSrdD, 12 // (4)
.set sgprSrdC, 16 // (4)
.set sgprTensor2dSizeA, 20 // (2)
.set sgprTensor2dSizeB, 22 // (2)
.set sgprAddressD, 24 // (2)
.set sgprAddressC, 26 // (2)
.set sgprAddressA, 28 // (2)
.set sgprAddressB, 30 // (2)
.set sgprAlpha, 32 // (2)
.set sgprBeta, 34 // (2)
.set sgprStridesD, 36 // (2)
.set sgprStridesC, 38 // (2)
.set sgprStridesA, 40 // (2)
.set sgprStridesB, 42 // (2)
.set sgprSizesFree, 44 // (3)
.set sgprSizesSum, 47 // (1)
.set sgprNumWorkGroups0, 48 // (1)
.set sgprNumWorkGroups1, 49 // (1)
.set sgprNumFullBlocks, 50 // (1)
.set sgprWgmRemainder1, 51 // (1)
.set sgprMagicNumberWgmRemainder1, 52 // (1)
/* max SGPR=56 */

/* Size Assignments */
.set sgprSizeI, sgprSizesFree+0
.set sgprSizeJ, sgprSizesFree+1
.set sgprSizeK, sgprSizesFree+2
.set sgprSizeL, sgprSizesSum+0

/* Stride Assignments */
.set constStrideD0I, 1
.set sgprStrideD1J, sgprStridesD+0
.set sgprStrideDK, sgprStridesD+1
.set constStrideC0I, 1
.set sgprStrideC1J, sgprStridesC+0
.set sgprStrideCK, sgprStridesC+1
.set constStrideAL, 1
.set sgprStrideA0I, sgprStridesA+0
.set sgprStrideAK, sgprStridesA+1
.set constStrideBL, 1
.set sgprStrideB1J, sgprStridesB+0
.set sgprStrideBK, sgprStridesB+1

.set MT0, 128
.set MT1, 16
.set DepthU, 32
.set GSU, 225
.set BpeA, 8
.set BpeALog2, 3
.set BpeB, 8
.set BpeBLog2, 3
/* Number of elements to shift-left SRD */
.set SrdShiftLeftA, 2
.set SrdShiftLeftB, 2
/* 2GB limit - set offsets to -1 to exceed this and clamp */
.set BufferLimitA, 0xffffffff
.set BufferLimitB, 0xffffffff
.set BufferOOB, 0xfffff000

/******************************************/
/* Bits 127:96 of SRD.                    */
/* hex: 0x00020000                        */
/* dst_sel_x (3b): 0                      */
/* dst_sel_y (3b): 0                      */
/* dst_sel_z (3b): 0                      */
/* dst_sel_w (3b): 0                      */
/* num_format (3b): 0                     */
/* data_format (4b): 4                    */
/* user_vm_enable (1b): 0                 */
/* user_vm_mode (1b): 0                   */
/* index_stride (2b): 0                   */
/* add_tid_enable (1b): 0                 */
/* _unusedA (3b): 0                       */
/* nv (1b): 0                             */
/* _unusedB (2b): 0                       */
/* type (2b): 0                           */
/******************************************/
.set Srd127_96, 0x00020000

/* Global Offset A */
.macro GLOBAL_OFFSET_A vgprAddr:req vgprOffsetL:req vgprOffset0I:req sgprOffsetK:req vgprTmp:req
v_mul_lo_u32 v[\vgprTmp+0], s[sgprStrideA0I], v[\vgprOffset0I] // mul d1 lower
v_mul_hi_u32 v[\vgprTmp+1], s[sgprStrideA0I], v[\vgprOffset0I] // mul d1 upper
_v_add_co_u32 v[\vgprAddr+0], vcc, v[\vgprOffsetL], v[\vgprTmp+0] // accumulate K lower
_v_addc_co_u32 v[\vgprAddr+1], vcc, v[\vgprTmp+1], 0, vcc // accumulate K upper
v_mov_b32 v[\vgprTmp+2], s[\sgprOffsetK]           // sgprOffset -> vgprTmp+2
v_mul_lo_u32 v[\vgprTmp+0], s[sgprStrideAK], v[\vgprTmp+2] // other stride mul d2 lower
v_mul_hi_u32 v[\vgprTmp+1], s[sgprStrideAK], v[\vgprTmp+2] // mul d2 upper
_v_add_co_u32 v[\vgprAddr+0], vcc, v[\vgprAddr+0], v[\vgprTmp+0] // accumulate K lower
_v_addc_co_u32 v[\vgprAddr+1], vcc, v[\vgprTmp+1], v[\vgprAddr+1], vcc // accumulate K upper
v_lshlrev_b64 v[\vgprAddr+0:\vgprAddr+1], 0x3, v[\vgprAddr+0:\vgprAddr+1] // offset *= bytes/element
.endm

/* Global Offset B */
.macro GLOBAL_OFFSET_B vgprAddr:req vgprOffsetL:req vgprOffset1J:req sgprOffsetK:req vgprTmp:req
v_mul_lo_u32 v[\vgprTmp+0], s[sgprStrideB1J], v[\vgprOffset1J] // mul d1 lower
v_mul_hi_u32 v[\vgprTmp+1], s[sgprStrideB1J], v[\vgprOffset1J] // mul d1 upper
_v_add_co_u32 v[\vgprAddr+0], vcc, v[\vgprOffsetL], v[\vgprTmp+0] // accumulate K lower
_v_addc_co_u32 v[\vgprAddr+1], vcc, v[\vgprTmp+1], 0, vcc // accumulate K upper
v_mov_b32 v[\vgprTmp+2], s[\sgprOffsetK]           // sgprOffset -> vgprTmp+2
v_mul_lo_u32 v[\vgprTmp+0], s[sgprStrideBK], v[\vgprTmp+2] // other stride mul d2 lower
v_mul_hi_u32 v[\vgprTmp+1], s[sgprStrideBK], v[\vgprTmp+2] // mul d2 upper
_v_add_co_u32 v[\vgprAddr+0], vcc, v[\vgprAddr+0], v[\vgprTmp+0] // accumulate K lower
_v_addc_co_u32 v[\vgprAddr+1], vcc, v[\vgprTmp+1], v[\vgprAddr+1], vcc // accumulate K upper
v_lshlrev_b64 v[\vgprAddr+0:\vgprAddr+1], 0x3, v[\vgprAddr+0:\vgprAddr+1] // offset *= bytes/element
.endm

/******************************************/
/* Dynamic Scalar Divide: vQuotient=vDividend/vDivisor; vRemainder=vDividend%vDivisor; */
/******************************************/
.macro DYNAMIC_VECTOR_DIVIDE vQuotient vRemainder vDividend vDivisor vTmp0 vTmp1 sTmp
v_cvt_f32_u32 v[\vQuotient], v[\vDivisor]          // 
v_rcp_f32 v[\vQuotient], v[\vQuotient]             // 
v_mul_f32 v[\vQuotient], 0x4f800000, v[\vQuotient] // 
v_cvt_u32_f32 v[\vQuotient], v[\vQuotient]         // 
v_mul_lo_u32 v[\vRemainder], v[\vDivisor], v[\vQuotient] // 
v_mul_hi_u32 v[\vTmp0], v[\vDivisor], v[\vQuotient] // 
_v_sub_co_u32 v[\vTmp1], vcc, 0x0, v[\vRemainder]  // 
v_cmp_ne_i32 s[\sTmp:\sTmp+1], 0x0, v[\vTmp0]      // 
v_cndmask_b32 v[\vRemainder], v[\vTmp1], v[\vRemainder], s[\sTmp:\sTmp+1] // 
v_mul_hi_u32 v[\vRemainder], v[\vRemainder], v[\vQuotient] // 
_v_sub_co_u32 v[\vTmp0], vcc, v[\vQuotient], v[\vRemainder] // 
_v_add_co_u32 v[\vQuotient], vcc, v[\vQuotient], v[\vRemainder] // 
v_cndmask_b32 v[\vQuotient], v[\vQuotient], v[\vTmp0], s[\sTmp:\sTmp+1] // 
v_mul_hi_u32 v[\vQuotient], v[\vQuotient], v[\vDividend] // 
v_mul_lo_u32 v[\vRemainder], v[\vQuotient], v[\vDivisor] // 
_v_sub_co_u32 v[\vTmp0], vcc, v[\vDividend], v[\vRemainder] // 
v_cmp_ge_u32 s[\sTmp:\sTmp+1], v[\vDividend], v[\vRemainder] // 
_v_add_co_u32 v[\vRemainder], vcc, 0x1, v[\vQuotient] // 
_v_add_co_u32 v[\vTmp1], vcc, -1, v[\vQuotient]    // 
v_cmp_le_u32 vcc, v[\vDivisor], v[\vTmp0]          // 
s_and_b64 vcc, s[\sTmp:\sTmp+1], vcc               // 
v_cndmask_b32 v[\vQuotient], v[\vQuotient], v[\vRemainder], vcc // 
v_cndmask_b32 v[\vQuotient], v[\vTmp1], v[\vQuotient], s[\sTmp:\sTmp+1] // 
v_cmp_ne_i32 vcc, 0x0, v[\vDivisor]                // 
v_cndmask_b32 v[\vQuotient], -1, v[\vQuotient], vcc // final result
v_mul_lo_u32 v[\vRemainder], v[\vQuotient], v[\vDivisor] // 
_v_sub_co_u32 v[\vRemainder], vcc, v[\vDividend], v[\vRemainder] // final result
.endm


	;; [unrolled: 1-line block ×3, first 2 shown]
/******************************************/
/* Allocate Resources                     */
/******************************************/

Cijk_Alik_Bljk_DB_MT128x16x32_MI16x16x4x1_SN_1LDSB1_APM1_AF0EM2_AF1EM1_AMAS3_ASE_ASGT_ASLT133_ASM_ASAE01_ASCE01_ASEM1_BL0_BS1_CLR0_DTVA0_DTVB0_ETSP_EPS0_ELFLR0_EMLL0_FSSC10_FL0_GLVWA2_GLVWB2_GRCGA1_GRPM1_GRVW2_GSU225_GSUAMB_GLS0_IU1_K1_LBSPPA256_LBSPPB256_LPA4_LPB4_LRVW2_LWPMn1_MIAV0_MKFGSU256_NTA0_NTB0_NTC3_NTD3_NEPBS8_NLCA1_NLCB1_ONLL1_PGR2_PLR9_PKA0_SIA3_SLW1_SS1_SU0_SUM0_SUS0_SPO1_SRVW0_SSO8_SVW1_TSGRA0_TSGRB0_TT2_16_TLDS1_UMLDSA1_UMLDSB1_USFGROn1_VAW1_VSn1_VW2_VWB1_VFLRP0_WSGRA0_WSGRB0_WG64_4_1_WGM18_preloaded: // Kernel start when preloading
s_setprio 3                                        // optimization store

/* Load Kernel Args */
_s_load_b512 s[20:35], s[sgprKernArgAddress:sgprKernArgAddress+1], 0x0 // 
_s_load_b512 s[36:51], s[sgprKernArgAddress:sgprKernArgAddress+1], 0x40 // 
_s_load_b32 s52, s[sgprKernArgAddress:sgprKernArgAddress+1], 0x80 // 
s_mov_b32 m0, 0xa200                               // LDS clamp at 41472 bytes
v_mov_b32 v[vgprSerial], v0                        // thread serial id

/******************************************/
/* Local Read Addresses                   */
/******************************************/


/* local read addresses: tile assignments a/b */

/*lr0I*/
v_and_b32 v1, 63, v[vgprSerial]                    // 0. thread id in wave: wtid = tid % wavelength(64)
v_and_b32 v0, 15, v1                               // 1. N offset: nIdx = wtid % MI_N(16)
v_lshlrev_b32 v0, 0x5, v0                          // 1. N offset: nOffset = nIdx * nStride(32)
                                                   // 2. block offset: bnIdx = bnIdx % num1DBlocks(1) is 0. do nothing
v_lshlrev_b32 v0, 0x1, v0                          // 4. apply VectorWidth: bnOffset = bnOffset * vw(2)
v_lshrrev_b32 v1, 4, v1                            // 5. K offset: kIdx = wtid / (MIN(16) * MIBB(1))
v_lshlrev_b32 v1, 0x1, v1                          // 5. K offset: lrKOffset = kIdx * mStride(2)
_v_add_u32 v0, v1, v0                              // 6. offset in wave: lrOffset = bnOffset + lrKOffset
v_lshrrev_b32 v2, 6, v[vgprSerial]                 // 7. wave offset in N dimen: wtid = tid / dividedForWaveId(64)
v_and_b32 v1, 3, v2                                // 7. wave offset in M dimen: wtid0 = wtid / num1DWaves(4)
v_lshlrev_b32 v1, 0xa, v1                          // 7. wave offset in M dimen: wOffset = wtid0 * W0Stride(1024)
_v_add_u32 v0, v1, v0                              // 8. final local read offset: flrOffset = lrOffset + WOffset
/*lr1J*/
v_and_b32 v2, 63, v[vgprSerial]                    // 0. thread id in wave: wtid = tid % wavelength(64)
v_and_b32 v1, 15, v2                               // 1. N offset: nIdx = wtid % MI_N(16)
v_lshlrev_b32 v1, 0x5, v1                          // 1. N offset: nOffset = nIdx * nStride(32)
                                                   // 2. block offset: bnIdx = bnIdx % num1DBlocks(1) is 0. do nothing
                                                   // 4. apply VectorWidth: bnOffset = bnOffset * vw(1) (multiplier is 1, do nothing)
v_lshrrev_b32 v2, 4, v2                            // 5. K offset: kIdx = wtid / (MIN(16) * MIBB(1))
v_lshlrev_b32 v2, 0x1, v2                          // 5. K offset: lrKOffset = kIdx * mStride(2)
_v_add_u32 v1, v2, v1                              // 6. offset in wave: lrOffset = bnOffset + lrKOffset


/* local read addresses: final offsets a */

v_lshlrev_b32 v[vgprLocalReadAddrA], 0x3, v0       // Final Offset: offset = (lro0)*bpe
v_lshrrev_b32 v0, 8, v[vgprLocalReadAddrA]         // Final Offset: padding 4 per block 256
v_lshlrev_b32 v0, 0x5, v0                          // Final Offset: padding 4 per block 256
_v_add_u32 v[vgprLocalReadAddrA], v0, v[vgprLocalReadAddrA] // Final Offset: add padding 4 per block 256


/* local read addresses: final offsets b */

v_lshlrev_b32 v[vgprLocalReadAddrB], 0x3, v1       // Final Offset: offset = (lro1)*bpe
v_lshrrev_b32 v0, 8, v[vgprLocalReadAddrB]         // Final Offset: padding 4 per block 256
v_lshlrev_b32 v0, 0x5, v0                          // Final Offset: padding 4 per block 256
_v_add_u32 v[vgprLocalReadAddrB], v0, v[vgprLocalReadAddrB] // Final Offset: add padding 4 per block 256


/* local read addresses: declare addresses a */

/* N/A */


/* local read addresses: declare addresses b */

_v_add_co_u32 v[vgprLocalReadAddrB+0], vcc, 0x9000, v[vgprLocalReadAddrB+0] //  += LdsOffsetB (lower)
s_waitcnt lgkmcnt(0)                               // wait for 132 bytes of kern args
s_mov_b64 s[sgprSrdC+0:sgprSrdC+0+1], s[sgprAddressC+0:sgprAddressC+0+1] // copy addressC
s_mov_b64 s[sgprSrdD+0:sgprSrdD+0+1], s[sgprAddressD+0:sgprAddressD+0+1] // copy addressD

.set AddressD, UNDEF
.set AddressC, UNDEF

/* Short circuit condition if Alpha == 0, then sumDims=0 */
v_cmp_eq_f64 vcc, s[sgprAlpha:sgprAlpha+1], 0.0    // Alpha == 0.0 ?
s_cbranch_vccz label_AlphaNonZero                  // branch if Alpha != 0
s_mov_b32 s[sgprSizesSum+0], 0x0                   // Set summation dim=0 if Alpha == 0
label_AlphaNonZero:


	;; [unrolled: 1-line block ×3, first 2 shown]
/******************************************/
/* Begin setupNewTile, isPap=False           */
/******************************************/


/* global read addresses: work-group */

/* graWorkGroup mapping */
// GSU-not-WGMapRR :nwg1 = (size1J + MT1J - 1) / MT1J;
s_mov_b32 s26, s[sgprWorkGroup1]                   // copying for divisor
s_mov_b32 s25, 0x0                                 // STATIC_DIV: divisior=225
s_mul_i32 s24, 0x246, s26                          // tmp1 = dividend * magic hi
s_lshl_b64 s[24:25], s[24:25], 0x10                // left shift 16 bits
s_mul_i32 s[sgprWorkGroup1], s26, 0x8ad0           // tmp0 = dividend * magic lo
s_add_u32 s24, s[sgprWorkGroup1], s24              // add lo
s_addc_u32 s25, s25, 0x0                           // add hi
s_lshr_b64 s[24:25], s[24:25], 0x21                // tmp1 = (dividend * magic) << shift
s_mov_b32 s[sgprWorkGroup1], s24                   // quotient
s_mul_i32 s24, s[sgprWorkGroup1], 0xe1             // quotient*divisor
s_sub_u32 s[sgprGSUSumIdx], s26, s24               // rReg = dividend - quotient*divisor
s_mov_b32 s27, 0x71c71c8L                          // magic number for WGM==18
s_mul_hi_u32 s25, s[sgprWorkGroup1], s27           // s_magic mul
s_mul_i32 s24, s[sgprWorkGroup1], s27              // s_magic mul
s_lshr_b64 s[24:25], s[24:25], 31                  // sMagicDiv
s_mul_i32 s25, s24, 18                             // quotient * non-magic divisor
s_sub_u32 s25, s[sgprWorkGroup1], s25              // WorkGroup1=remainder
s_mul_i32 s25, s25, s[sgprNumWorkGroups0]          // (wg1 % WGM)*nwg0
s_add_u32 s25, s25, s[sgprWorkGroup0]              // wgSerial = wg0 + (wg1 % WGM)*nwg1
s_cmp_ge_u32 s24, s[sgprNumFullBlocks]             // blockId >= numFullBlocks ?
s_cmov_b32 s27, s[sgprMagicNumberWgmRemainder1]    // 
s_cselect_b32 s26, s[sgprWgmRemainder1], 18        // 
s_mul_hi_u32 s3, s25, s27                          // s_magic mul
s_mul_i32 s2, s25, s27                             // s_magic mul
s_lshr_b64 s[2:3], s[2:3], 31                      // sMagicDiv
s_mul_i32 s[sgprWorkGroup1], s[sgprWorkGroup0], s26 // quotient * non-magic divisor
s_sub_u32 s[sgprWorkGroup1], s25, s[sgprWorkGroup1] // WorkGroup1=remainder
s_mul_i32 s24, s24, 18                             // blockId * WGM
s_add_u32 s[sgprWorkGroup1], s[sgprWorkGroup1], s24 // wg1 += blockId * WGM


/* global read addresses: tile offset assignment a */

/* LVCA = 16 */
/* v2 = groA-tile = serial/LVCA + (wgA*MTA) */
/* v1 = groA-unroll = serial%LVCA */
v_lshrrev_b32 v0, 4, v[vgprSerial]                 // v0 = v[vgprSerial] / 16
v_and_b32 v1, 15, v[vgprSerial]                    // v1 = v[vgprSerial] % 16
/* gro-unroll *= glvw */
v_lshlrev_b32 v1, 0x1, v1                          // v1 = v1 * 2
v_lshlrev_b32 v3, 0x7, s[sgprWorkGroup0]           // v3 = s[sgprWorkGroup0] * 128
_v_add_co_u32 v2, vcc, v3, v0                      // groA-tile = serial/LVCA*VW + (wgA*MTA)
v_mov_b32 v3, v1                                   // copy for GlobalSplitU


/* global read addresses: tile offset assignment b */

/* LVCB = 16 */
/* v6 = groB-tile = serial/LVCB + (wgB*MTB) */
/* v5 = groB-unroll = serial%LVCB */
v_lshrrev_b32 v4, 4, v[vgprSerial]                 // v4 = v[vgprSerial] / 16
v_and_b32 v5, 15, v[vgprSerial]                    // v5 = v[vgprSerial] % 16
/* gro-unroll *= glvw */
v_lshlrev_b32 v5, 0x1, v5                          // v5 = v5 * 2
v_lshlrev_b32 v7, 0x4, s[sgprWorkGroup1]           // v7 = s[sgprWorkGroup1] * 16
_v_add_co_u32 v6, vcc, v7, v4                      // groB-tile = serial/LVCB*VW + (wgB*MTB)
v_mov_b32 v7, v5                                   // copy for GlobalSplitU


/* global read addresses: unroll assignment a */

v_mov_b32 v8, s[sgprGSUSumIdx]                     // =gsuSumIdx
v_lshlrev_b32 v8, 0x5, v8                          // v8 = v8 * 32
_v_add_co_u32 v1, vcc, v8, v1                      // graUnrollAssignment += gsuOffset


/* global read addresses: unroll assignment b */

v_mov_b32 v8, s[sgprGSUSumIdx]                     // =gsuSumIdx
v_lshlrev_b32 v8, 0x5, v8                          // v8 = v8 * 32
_v_add_co_u32 v5, vcc, v8, v5                      // graUnrollAssignment += gsuOffset


/* global read addresses: other free assignments */

/* s[sgprWorkGroup2] */


/* global read addresses: tile offsets a */

v_mov_b32 v8, v2                                   // groA0I_0
_v_add_co_u32 v9, vcc, 16, v8                      // groA0I_1 += LSPA
_v_add_co_u32 v10, vcc, 16, v9                     // groA0I_2 += LSPA
_v_add_co_u32 v11, vcc, 16, v10                    // groA0I_3 += LSPA
_v_add_co_u32 v12, vcc, 16, v11                    // groA0I_4 += LSPA
_v_add_co_u32 v13, vcc, 16, v12                    // groA0I_5 += LSPA
_v_add_co_u32 v14, vcc, 16, v13                    // groA0I_6 += LSPA
_v_add_co_u32 v15, vcc, 16, v14                    // groA0I_7 += LSPA


/* global read addresses: tile offsets b */

v_mov_b32 v2, v6                                   // groB1J_0


/* global read addresses: unroll offsets a */

v_mov_b32 v6, v1                                   // groAL_0


/* global read addresses: unroll offsets b */

v_mov_b32 v16, v5                                  // groBL_0


/* global read addresses: shift a */

s_sub_u32 s0, s[sgprSizeI], 1                      // edge = Size0I-1
v_mov_b32 v17, s0                                  // edge vgpr = Size0I-1
v_cmp_lt_u32 s[0:1], v8, v17                       // shiftedOffset < shiftedEdge
v_cndmask_b32 v8, v17, v8, s[0:1]                  // offset = (offset < edge) ? offset(v8) : edge(v17)
v_cmp_lt_u32 s[0:1], v9, v17                       // shiftedOffset < shiftedEdge
v_cndmask_b32 v9, v17, v9, s[0:1]                  // offset = (offset < edge) ? offset(v9) : edge(v17)
v_cmp_lt_u32 s[0:1], v10, v17                      // shiftedOffset < shiftedEdge
v_cndmask_b32 v10, v17, v10, s[0:1]                // offset = (offset < edge) ? offset(v10) : edge(v17)
v_cmp_lt_u32 s[0:1], v11, v17                      // shiftedOffset < shiftedEdge
v_cndmask_b32 v11, v17, v11, s[0:1]                // offset = (offset < edge) ? offset(v11) : edge(v17)
	;; [unrolled: 2-line block ×6, first 2 shown]


/* global read addresses: shift b */

s_sub_u32 s0, s[sgprSizeJ], 1                      // edge = Size1J-1
v_mov_b32 v17, s0                                  // edge vgpr = Size1J-1
v_cmp_lt_u32 s[0:1], v2, v17                       // shiftedOffset < shiftedEdge
v_cndmask_b32 v2, v17, v2, s[0:1]                  // offset = (offset < edge) ? offset(v2) : edge(v17)


/* global read addresses: final offsets a */

GLOBAL_OFFSET_A vgprGlobalReadAddrA+0,  6,  8, sgprWorkGroup2, 17 // gROA_0_0_0_0
GLOBAL_OFFSET_A vgprGlobalReadAddrA+2,  6,  9, sgprWorkGroup2, 17 // gROA_0_0_1_0
GLOBAL_OFFSET_A vgprGlobalReadAddrA+4,  6, 10, sgprWorkGroup2, 17 // gROA_0_0_2_0
GLOBAL_OFFSET_A vgprGlobalReadAddrA+6,  6, 11, sgprWorkGroup2, 17 // gROA_0_0_3_0
GLOBAL_OFFSET_A vgprGlobalReadAddrA+8,  6, 12, sgprWorkGroup2, 17 // gROA_0_0_4_0
GLOBAL_OFFSET_A vgprGlobalReadAddrA+10,  6, 13, sgprWorkGroup2, 17 // gROA_0_0_5_0
GLOBAL_OFFSET_A vgprGlobalReadAddrA+12,  6, 14, sgprWorkGroup2, 17 // gROA_0_0_6_0
GLOBAL_OFFSET_A vgprGlobalReadAddrA+14,  6, 15, sgprWorkGroup2, 17 // gROA_0_0_7_0


/* global read addresses: final offsets b */

GLOBAL_OFFSET_B vgprGlobalReadAddrB+0, 16,  2, sgprWorkGroup2, 8 // gROB_0_0_0_0


/* global read addresses: addresses a */

v_mov_b32 v8, s[sgprAddressA+0]                    // 
v_mov_b32 v9, s[sgprAddressA+1]                    // 
_v_add_co_u32 v[vgprGlobalReadAddrA+0+0], vcc, v[vgprGlobalReadAddrA+0+0], v8 // gRAA_0_0_0_0 = addrA+grOA_0_0_0_0 (lower)
_v_addc_co_u32 v[vgprGlobalReadAddrA+0+1], vcc, v[vgprGlobalReadAddrA+0+1], v9, vcc // gRAA_0_0_0_0 = addrA+grOA_0_0_0_0 (upper)
_v_add_co_u32 v[vgprGlobalReadAddrA+2+0], vcc, v[vgprGlobalReadAddrA+2+0], v8 // gRAA_0_0_1_0 = addrA+grOA_0_0_1_0 (lower)
_v_addc_co_u32 v[vgprGlobalReadAddrA+2+1], vcc, v[vgprGlobalReadAddrA+2+1], v9, vcc // gRAA_0_0_1_0 = addrA+grOA_0_0_1_0 (upper)
_v_add_co_u32 v[vgprGlobalReadAddrA+4+0], vcc, v[vgprGlobalReadAddrA+4+0], v8 // gRAA_0_0_2_0 = addrA+grOA_0_0_2_0 (lower)
_v_addc_co_u32 v[vgprGlobalReadAddrA+4+1], vcc, v[vgprGlobalReadAddrA+4+1], v9, vcc // gRAA_0_0_2_0 = addrA+grOA_0_0_2_0 (upper)
_v_add_co_u32 v[vgprGlobalReadAddrA+6+0], vcc, v[vgprGlobalReadAddrA+6+0], v8 // gRAA_0_0_3_0 = addrA+grOA_0_0_3_0 (lower)
_v_addc_co_u32 v[vgprGlobalReadAddrA+6+1], vcc, v[vgprGlobalReadAddrA+6+1], v9, vcc // gRAA_0_0_3_0 = addrA+grOA_0_0_3_0 (upper)
_v_add_co_u32 v[vgprGlobalReadAddrA+8+0], vcc, v[vgprGlobalReadAddrA+8+0], v8 // gRAA_0_0_4_0 = addrA+grOA_0_0_4_0 (lower)
_v_addc_co_u32 v[vgprGlobalReadAddrA+8+1], vcc, v[vgprGlobalReadAddrA+8+1], v9, vcc // gRAA_0_0_4_0 = addrA+grOA_0_0_4_0 (upper)
_v_add_co_u32 v[vgprGlobalReadAddrA+10+0], vcc, v[vgprGlobalReadAddrA+10+0], v8 // gRAA_0_0_5_0 = addrA+grOA_0_0_5_0 (lower)
_v_addc_co_u32 v[vgprGlobalReadAddrA+10+1], vcc, v[vgprGlobalReadAddrA+10+1], v9, vcc // gRAA_0_0_5_0 = addrA+grOA_0_0_5_0 (upper)
_v_add_co_u32 v[vgprGlobalReadAddrA+12+0], vcc, v[vgprGlobalReadAddrA+12+0], v8 // gRAA_0_0_6_0 = addrA+grOA_0_0_6_0 (lower)
_v_addc_co_u32 v[vgprGlobalReadAddrA+12+1], vcc, v[vgprGlobalReadAddrA+12+1], v9, vcc // gRAA_0_0_6_0 = addrA+grOA_0_0_6_0 (upper)
_v_add_co_u32 v[vgprGlobalReadAddrA+14+0], vcc, v[vgprGlobalReadAddrA+14+0], v8 // gRAA_0_0_7_0 = addrA+grOA_0_0_7_0 (lower)
_v_addc_co_u32 v[vgprGlobalReadAddrA+14+1], vcc, v[vgprGlobalReadAddrA+14+1], v9, vcc // gRAA_0_0_7_0 = addrA+grOA_0_0_7_0 (upper)


/* global read addresses: addresses b */

v_mov_b32 v8, s[sgprAddressB+0]                    // 
v_mov_b32 v9, s[sgprAddressB+1]                    // 
_v_add_co_u32 v[vgprGlobalReadAddrB+0+0], vcc, v[vgprGlobalReadAddrB+0+0], v8 // gRAB_0_0_0_0 = addrB+grOB_0_0_0_0 (lower)
_v_addc_co_u32 v[vgprGlobalReadAddrB+0+1], vcc, v[vgprGlobalReadAddrB+0+1], v9, vcc // gRAB_0_0_0_0 = addrB+grOB_0_0_0_0 (upper)


/* global read addresses: increments a */

s_mul_i32 s0, DepthU*1800, constStrideAL           // incrAL = constStrideAL*DepthU*bpe (unrollIdx)
s_mov_b32 s1, 0x0                                  // (carry)
v_mov_b32 v[vgprGlobalReadIncsA+0+0], s0           // 
v_mov_b32 v[vgprGlobalReadIncsA+0+1], s1           // 


/* global read addresses: increments b */

s_mul_i32 s0, DepthU*1800, constStrideBL           // incrBL = constStrideBL*DepthU*bpe (unrollIdx)
s_mov_b32 s1, 0x0                                  // (carry)
v_mov_b32 v[vgprGlobalReadIncsB+0+0], s0           // 
v_mov_b32 v[vgprGlobalReadIncsB+0+1], s1           // 


/******************************************/
/* Local Write Addresses                  */
/******************************************/

/* lwaTileAssignmentA = v0 */

/* lwaTileAssignmentB = v4 */

/* lwaUnrollAssignmentA = v3 */

/* lwaUnrollAssignmentB = v7 */


/* local write addresses: first offset a */

v_mul_u32_u24 v[vgprLocalWriteAddrA], 0x20, v0     // lwAL**(DepthU_Compute + PAD)
_v_add_lshl_u32 v[vgprLocalWriteAddrA], v3, v[vgprLocalWriteAddrA], 0x3 // lwFOA = (lwAA + lwAL*(DepthU+PAD))*bpe
v_lshrrev_b32 v3, 8, v[vgprLocalWriteAddrA]        // padding 4 per block 256
v_lshlrev_b32 v3, 0x5, v3                          // padding 4 per block 256
_v_add_u32 v[vgprLocalWriteAddrA], v3, v[vgprLocalWriteAddrA] // add padding 4 per block 256


/* local write addresses: first offset b */

v_mul_u32_u24 v[vgprLocalWriteAddrB], 0x20, v4     // lwBL**(DepthU_Compute + PAD)
_v_add_lshl_u32 v[vgprLocalWriteAddrB], v7, v[vgprLocalWriteAddrB], 0x3 // lwFOB = (lwBB + lwBL*(DepthU+PAD))*bpe
v_lshrrev_b32 v7, 8, v[vgprLocalWriteAddrB]        // padding 4 per block 256
v_lshlrev_b32 v7, 0x5, v7                          // padding 4 per block 256
_v_add_u32 v[vgprLocalWriteAddrB], v7, v[vgprLocalWriteAddrB] // add padding 4 per block 256
_v_add_co_u32 v[vgprLocalWriteAddrB], vcc, 0x9000, v[vgprLocalWriteAddrB] // lwFOB = lwB1J + lwBL*MT1J + LDS_OFFSET_B=4608*8


	;; [unrolled: 1-line block ×7, first 2 shown]
/* declare loop num iterations */


s_lshr_b32 s[sgprLoopCounterL], s[sgprSizesSum+0], 5 // s[sgprLoopCounterL] = s[sgprSizesSum+0] / 32
v_mov_b32 v2, s[sgprLoopCounterL]                  // copy for divide IterGsu
s_mov_b32 s24, 0x2468ad0                           // v0 = v2 / 225
v_mul_hi_u32 v0, v2, s24                           // v0 = v2 / 225
v_lshrrev_b32 v0, 0x1, v0                          // v0 = v2 / 225
s_mov_b32 s24, 0xe1                                // v1 = v2 % 225
v_mul_lo_u32 v1, v0, s24                           // v1 = v2 % 225
_v_sub_u32 v1, v2, v1                              // v1 = v2 % 225
v_readfirstlane_b32 s[sgprLoopCounterL], v0        // 
v_readfirstlane_b32 s[sgprGSUSumIdx+1], v1         // 
s_add_u32 s24, 1, s[sgprLoopCounterL]              // tmp<-numIterMyWg+
s_cmp_lt_u32 s[sgprGSUSumIdx], s[sgprGSUSumIdx+1]  // gsuSumIdx < numIterPerWgRemainder
s_cmov_b32 s[sgprLoopCounterL], s24                // numIterMyWg++ if needed
s_mov_b32 s[sgprOrigLoopCounter], s[sgprLoopCounterL] // copy loop counter

/* local read addresses: init pointers a */


/* localReadInitPointers */

/* local read addresses: init pointers b */


/* localReadInitPointers */


/* prefetch: global -> local */

s_cmp_eq_u32 s[sgprLoopCounterL], 0                // at last iteration?
s_setprio 0                                        // optimization store
s_cbranch_scc1 ShadowInitStart_10                  // skip to ShadowInitStart iter b/c numIter==0


_global_load_b128 v[vgprG2LA+0:vgprG2LA+0+3], v[vgprGlobalReadAddrA+0:vgprGlobalReadAddrA+0+1], off, offset:0 // G -> Reg 0_0_0_0
_global_load_b128 v[vgprG2LA+4:vgprG2LA+4+3], v[vgprGlobalReadAddrA+2:vgprGlobalReadAddrA+2+1], off, offset:0 // G -> Reg 0_0_1_0
_global_load_b128 v[vgprG2LA+8:vgprG2LA+8+3], v[vgprGlobalReadAddrA+4:vgprGlobalReadAddrA+4+1], off, offset:0 // G -> Reg 0_0_2_0
_global_load_b128 v[vgprG2LA+12:vgprG2LA+12+3], v[vgprGlobalReadAddrA+6:vgprGlobalReadAddrA+6+1], off, offset:0 // G -> Reg 0_0_3_0
_global_load_b128 v[vgprG2LA+16:vgprG2LA+16+3], v[vgprGlobalReadAddrA+8:vgprGlobalReadAddrA+8+1], off, offset:0 // G -> Reg 0_0_4_0
_global_load_b128 v[vgprG2LA+20:vgprG2LA+20+3], v[vgprGlobalReadAddrA+10:vgprGlobalReadAddrA+10+1], off, offset:0 // G -> Reg 0_0_5_0
_global_load_b128 v[vgprG2LA+24:vgprG2LA+24+3], v[vgprGlobalReadAddrA+12:vgprGlobalReadAddrA+12+1], off, offset:0 // G -> Reg 0_0_6_0
_global_load_b128 v[vgprG2LA+28:vgprG2LA+28+3], v[vgprGlobalReadAddrA+14:vgprGlobalReadAddrA+14+1], off, offset:0 // G -> Reg 0_0_7_0


_global_load_b128 v[vgprG2LB+0:vgprG2LB+0+3], v[vgprGlobalReadAddrB+0:vgprGlobalReadAddrB+0+1], off, offset:0 // G -> Reg 0_0_0_0


/* global read inc A loopL */
_v_add_co_u32  v[vgprGlobalReadAddrA+0+0], vcc, v[vgprGlobalReadAddrA+0+0], v[vgprGlobalReadIncsA+0+0] // gra += incAL (lower)
_v_addc_co_u32 v[vgprGlobalReadAddrA+0+1], vcc, v[vgprGlobalReadAddrA+0+1], v[vgprGlobalReadIncsA+0+1], vcc // gra += incAL (upper)
_v_add_co_u32  v[vgprGlobalReadAddrA+2+0], vcc, v[vgprGlobalReadAddrA+2+0], v[vgprGlobalReadIncsA+0+0] // gra += incAL (lower)
_v_addc_co_u32 v[vgprGlobalReadAddrA+2+1], vcc, v[vgprGlobalReadAddrA+2+1], v[vgprGlobalReadIncsA+0+1], vcc // gra += incAL (upper)
	;; [unrolled: 2-line block ×8, first 2 shown]

/* global read inc B loopL */
_v_add_co_u32  v[vgprGlobalReadAddrB+0+0], vcc, v[vgprGlobalReadAddrB+0+0], v[vgprGlobalReadIncsB+0+0] // gra += incBL (lower)
_v_addc_co_u32 v[vgprGlobalReadAddrB+0+1], vcc, v[vgprGlobalReadAddrB+0+1], v[vgprGlobalReadIncsB+0+1], vcc // gra += incBL (upper)


/******************************************/
/* End setupNewTile, isPap=False             */
/******************************************/

ShadowInitStart_10: // 

s_mov_b32 s[sgprSrdD+2], BufferOOB                 // 
s_mov_b32 s[sgprSrdD+3], Srd127_96                 // Set bits 127_96 in post-loop SRD

s_mov_b32 s[sgprSrdC+2], BufferOOB                 // 
s_mov_b32 s[sgprSrdC+3], Srd127_96                 // Set bits 127_96 in post-loop SRD


s_mul_i32 s26, MT1, s[sgprWorkGroup1]              // <- wg1*MT1
s_mul_hi_u32 s25, s26, s[sgprStrideC1J]            // CScale s26 by Stride
s_mul_i32 s24, s26, s[sgprStrideC1J]               // CScale s26 by Stride
s_lshl_b64 s[24:25], s[24:25], 3                   // scale by bpe
s_add_u32 s[sgprSrdC+0], s[sgprSrdC+0], s24        // add lo to SRD
s_addc_u32 s[sgprSrdC+1], s[sgprSrdC+1], s25       // add hi to SRD
s_mul_hi_u32 s25, s26, s[sgprStrideD1J]            // Scale s26 by Stride
s_mul_i32 s24, s26, s[sgprStrideD1J]               // Scale s26 by Stride
s_lshl_b64 s[24:25], s[24:25], 3                   // scale by bpe
s_add_u32 s[sgprSrdD+0], s[sgprSrdD+0], s24        // add lo to SRD
s_addc_u32 s[sgprSrdD+1], s[sgprSrdD+1], s25       // add hi to SRD

s_mul_hi_u32 s25, s[sgprWorkGroup2], s[sgprStrideCK] // CScale s[sgprWorkGroup2] by Stride
s_mul_i32 s24, s[sgprWorkGroup2], s[sgprStrideCK]  // CScale s[sgprWorkGroup2] by Stride
s_lshl_b64 s[24:25], s[24:25], 3                   // scale by bpe
s_add_u32 s[sgprSrdC+0], s[sgprSrdC+0], s24        // add lo to SRD
s_addc_u32 s[sgprSrdC+1], s[sgprSrdC+1], s25       // add hi to SRD
s_mul_hi_u32 s25, s[sgprWorkGroup2], s[sgprStrideDK] // Scale s[sgprWorkGroup2] by Stride
s_mul_i32 s24, s[sgprWorkGroup2], s[sgprStrideDK]  // Scale s[sgprWorkGroup2] by Stride
s_lshl_b64 s[24:25], s[24:25], 3                   // scale by bpe
s_add_u32 s[sgprSrdD+0], s[sgprSrdD+0], s24        // add lo to SRD
s_addc_u32 s[sgprSrdD+1], s[sgprSrdD+1], s25       // add hi to SRD

// GSU Output Buffer offset: Free0 + (Free1-1)*StrideC1J + (Free2-1)*StrideCK * GSUIdx * bpe
s_mul_hi_u32 s1, s[sgprSizesFree+0], s[sgprGSUSumIdx] // Free0
s_mul_i32 s0, s[sgprSizesFree+0], s[sgprGSUSumIdx] // Free0
s_sub_u32 s9, s[sgprSizesFree+1], 1                // Free1
s_mul_i32 s9, s9, s[sgprGSUSumIdx]                 // Free1
s_mul_hi_u32 s11, s9, s[sgprStrideC1J]             // Free1
s_mul_i32 s10, s9, s[sgprStrideC1J]                // Free1
s_add_u32 s0, s0, s10                              // Free1
s_addc_u32 s1, s1, s11                             // Free1
s_sub_u32 s9, s[sgprSizesFree+2], 1                // Free2
s_mul_i32 s9, s9, s[sgprGSUSumIdx]                 // Free2
s_mul_hi_u32 s11, s9, s[sgprStrideCK]              // Free2
s_mul_i32 s10, s9, s[sgprStrideCK]                 // Free2
s_add_u32 s0, s0, s10                              // Free2
s_addc_u32 s1, s1, s11                             // Free2
s_lshl_b64 s[0:1], s[0:1], 3                       // scale by bpe
s_add_u32 s[sgprSrdD+0], s[sgprSrdD+0], s0         // add lo GSU offset to SRD
s_addc_u32 s[sgprSrdD+1], s[sgprSrdD+1], s1        // add hi GSU offset to SRD


/* initC: remove C-tile 0-0 from pool */

/* initC: remove AB-tile 0-48 from pool */
v_mov_b32 v111, 15728640                           // set out-of-bound addr
_ds_load_b64 acc[0:1], v111, offset:0              // initC
_ds_load_b64 acc[2:3], v111, offset:0              // initC
_ds_load_b64 acc[4:5], v111, offset:0              // initC
_ds_load_b64 acc[6:7], v111, offset:0              // initC
_ds_load_b64 acc[8:9], v111, offset:0              // initC
_ds_load_b64 acc[10:11], v111, offset:0            // initC
_ds_load_b64 acc[12:13], v111, offset:0            // initC
	;; [unrolled: 1-line block ×3, first 2 shown]

s_cmp_eq_u32 s[sgprLoopCounterL], 0                // at last iteration?

/* after InitC, skip to end of prefetch last iter if numIter==0 */
s_cbranch_scc0 label_NoBranch_11                   // Only branch on scc1
s_getpc_B64 s[24:25]                               // addr of next instr
s_add_i32 s26, PrefetchGlobalLastIterEnd_5, 0x4    // target branch offset
s_add_u32 s24, s24, s26                            // add target branch offset
s_addc_u32 s25, s25, 0                             // add high and carry
s_setpc_b64 s[24:25]                               // branch to PrefetchGlobalLastIterEnd_5
label_NoBranch_11:

s_waitcnt vmcnt(0)                                 // lgkmcnt=-1 vmcnt=0 8wait for global read


/* local write a */
_ds_store_b128 v[vgprLocalWriteAddrA], v[vgprG2LA+0:vgprG2LA+0+3] offset:0 // lwoA_0_0_0_0 = (0*LSCA)*(MT0I+PAD) + (0*LSPA) = 0
_ds_store_b128 v[vgprLocalWriteAddrA], v[vgprG2LA+4:vgprG2LA+4+3] offset:4608 // lwoA_0_0_1_0 = (0*LSCA)*(MT0I+PAD) + (1*LSPA) = 4608
_ds_store_b128 v[vgprLocalWriteAddrA], v[vgprG2LA+8:vgprG2LA+8+3] offset:9216 // lwoA_0_0_2_0 = (0*LSCA)*(MT0I+PAD) + (2*LSPA) = 9216
_ds_store_b128 v[vgprLocalWriteAddrA], v[vgprG2LA+12:vgprG2LA+12+3] offset:13824 // lwoA_0_0_3_0 = (0*LSCA)*(MT0I+PAD) + (3*LSPA) = 13824
_ds_store_b128 v[vgprLocalWriteAddrA], v[vgprG2LA+16:vgprG2LA+16+3] offset:18432 // lwoA_0_0_4_0 = (0*LSCA)*(MT0I+PAD) + (4*LSPA) = 18432
_ds_store_b128 v[vgprLocalWriteAddrA], v[vgprG2LA+20:vgprG2LA+20+3] offset:23040 // lwoA_0_0_5_0 = (0*LSCA)*(MT0I+PAD) + (5*LSPA) = 23040
_ds_store_b128 v[vgprLocalWriteAddrA], v[vgprG2LA+24:vgprG2LA+24+3] offset:27648 // lwoA_0_0_6_0 = (0*LSCA)*(MT0I+PAD) + (6*LSPA) = 27648
_ds_store_b128 v[vgprLocalWriteAddrA], v[vgprG2LA+28:vgprG2LA+28+3] offset:32256 // lwoA_0_0_7_0 = (0*LSCA)*(MT0I+PAD) + (7*LSPA) = 32256

/* local write b */
_ds_store_b128 v[vgprLocalWriteAddrB], v[vgprG2LB+0:vgprG2LB+0+3] offset:0 // lwoB_0_0_0_0 = (0*LSCB)*(MT1J+PAD) + (0*LSPB) = 0


/* local write swap a */


	;; [unrolled: 1-line block ×3, first 2 shown]
/* local write swap b */




s_cmp_eq_u32 s[sgprLoopCounterL] 0x1               // PGR=2 but only 1 loop
s_cbranch_scc1 label_0012                          // PGR=2 but only 1 loop


_global_load_b128 v[vgprG2LA+0:vgprG2LA+0+3], v[vgprGlobalReadAddrA+0:vgprGlobalReadAddrA+0+1], off, offset:0 // G -> Reg 0_0_0_0
_global_load_b128 v[vgprG2LA+4:vgprG2LA+4+3], v[vgprGlobalReadAddrA+2:vgprGlobalReadAddrA+2+1], off, offset:0 // G -> Reg 0_0_1_0
_global_load_b128 v[vgprG2LA+8:vgprG2LA+8+3], v[vgprGlobalReadAddrA+4:vgprGlobalReadAddrA+4+1], off, offset:0 // G -> Reg 0_0_2_0
_global_load_b128 v[vgprG2LA+12:vgprG2LA+12+3], v[vgprGlobalReadAddrA+6:vgprGlobalReadAddrA+6+1], off, offset:0 // G -> Reg 0_0_3_0
_global_load_b128 v[vgprG2LA+16:vgprG2LA+16+3], v[vgprGlobalReadAddrA+8:vgprGlobalReadAddrA+8+1], off, offset:0 // G -> Reg 0_0_4_0
_global_load_b128 v[vgprG2LA+20:vgprG2LA+20+3], v[vgprGlobalReadAddrA+10:vgprGlobalReadAddrA+10+1], off, offset:0 // G -> Reg 0_0_5_0
_global_load_b128 v[vgprG2LA+24:vgprG2LA+24+3], v[vgprGlobalReadAddrA+12:vgprGlobalReadAddrA+12+1], off, offset:0 // G -> Reg 0_0_6_0
_global_load_b128 v[vgprG2LA+28:vgprG2LA+28+3], v[vgprGlobalReadAddrA+14:vgprGlobalReadAddrA+14+1], off, offset:0 // G -> Reg 0_0_7_0


_global_load_b128 v[vgprG2LB+0:vgprG2LB+0+3], v[vgprGlobalReadAddrB+0:vgprGlobalReadAddrB+0+1], off, offset:0 // G -> Reg 0_0_0_0

label_0012:                                        // 

s_waitcnt lgkmcnt(0)                               // lgkmcnt=0 vmcnt=-10prefetch wait for local write

// Skip force waitcnt0
s_barrier //


/* local read prefetch a */

_ds_load_b128 v[vgprValuA_X0_I0+0:vgprValuA_X0_I0+0+3], v[vgprLocalReadAddrA] offset:0 // L -> Reg lro=0 swapByteOffset=0 ti=128 vIdx=0 rIdx=0 oIdx=0 buffer=0 iui=0
_ds_load_b128 v[vgprValuA_X0_I0+4:vgprValuA_X0_I0+4+3], v[vgprLocalReadAddrA] offset:288 // L -> Reg lro=0 swapByteOffset=0 ti=128 vIdx=0 rIdx=0 oIdx=0 buffer=0 iui=0


/* local read prefetch b */

_ds_load_b128 v[vgprValuB_X0_I0+0:vgprValuB_X0_I0+0+3], v[vgprLocalReadAddrB] offset:0 // L -> Reg lro=0 swapByteOffset=0 ti=16 vIdx=0 rIdx=0 oIdx=0 buffer=0 iui=0


/* local read inc a */

/* N/A, lro->8 */
/* self.localReadDoCntA 1 self.localReadDoCntB 1 */


/* local read inc b */

/* N/A, lro->8 */
/* self.localReadDoCntA 1 self.localReadDoCntB 1 */


	;; [unrolled: 1-line block ×3, first 2 shown]
/******************************************/
/* Unrolled Loop(s) - Begin               */
/******************************************/

openLoopL_13:
s_cmp_eq_u32 s[sgprLoopCounterL], 0x1              // LoopCounterL < EndCounter
s_cbranch_scc1 label_0014                          // PGR=2 but only 1 loop, toPGR1
s_cmp_le_u32 s[sgprLoopCounterL], 0x2              // LoopCounterL < EndCounter
s_cbranch_scc1 LoopEndL_2                          // do not enter LoopL
LoopBeginL_1:


/******************************************/
/* Unrolled Loop 1/1 - Begin              */
/******************************************/

label_0015: // LoopCopy1 


/* Begin Each Unroll: Check VGPR.checkin for INT8 LW */



/* iter 0 */

/*  grEndMfmaIndex:6, lwStartMfmaIndex:13, lwEndMfmaIndex:13  */
/*  numMfmaForLR:1, barrierMfmaIndex:14, LocalWritePerMfma:9.000 */
/*  mfmaIndex:0  */
s_waitcnt lgkmcnt(0)                               // lgkmcnt=0 vmcnt=-1wait for prior local read local write old=0, new=0 newLW=0 newLR=0
v_mfma_f64_16x16x4_f64 a[0+0:7+0], v[vgprValuB_X0_I0+0+0+0:vgprValuB_X0_I0+0+0+0+1], v[vgprValuA_X0_I0+0+0+0:vgprValuA_X0_I0+0+0+0+1], a[0:7]
/*  mfmaIndex:1  */
_ds_load_b128 v[vgprValuA_X2_I0+0:vgprValuA_X2_I0+0+3], v[vgprLocalReadAddrA] offset:64 // L -> Reg lro=8 swapByteOffset=0 ti=128 vIdx=0 rIdx=0 oIdx=0 buffer=2 iui=0
_ds_load_b128 v[vgprValuB_X2_I0+0:vgprValuB_X2_I0+0+3], v[vgprLocalReadAddrB] offset:64 // L -> Reg lro=8 swapByteOffset=0 ti=16 vIdx=0 rIdx=0 oIdx=0 buffer=2 iui=0
_ds_load_b128 v[vgprValuA_X2_I0+4:vgprValuA_X2_I0+4+3], v[vgprLocalReadAddrA] offset:352 // L -> Reg lro=8 swapByteOffset=0 ti=128 vIdx=0 rIdx=0 oIdx=0 buffer=2 iui=0

/* global read inc A loopL */
_v_add_co_u32  v[vgprGlobalReadAddrA+0+0], vcc, v[vgprGlobalReadAddrA+0+0], v[vgprGlobalReadIncsA+0+0] // gra += incAL (lower)
_v_addc_co_u32 v[vgprGlobalReadAddrA+0+1], vcc, v[vgprGlobalReadAddrA+0+1], v[vgprGlobalReadIncsA+0+1], vcc // gra += incAL (upper)
_v_add_co_u32  v[vgprGlobalReadAddrA+2+0], vcc, v[vgprGlobalReadAddrA+2+0], v[vgprGlobalReadIncsA+0+0] // gra += incAL (lower)
v_mfma_f64_16x16x4_f64 a[8+0:15+0], v[vgprValuB_X0_I0+0+0+0:vgprValuB_X0_I0+0+0+0+1], v[vgprValuA_X0_I0+4+0+0:vgprValuA_X0_I0+4+0+0+1], a[8:15]
/* numPrefetchIter=0 */
/* dataAtIterA=-1 numReadsIterA=1 skipReadsIterA=1 readsPerIterA=2 */
/* dataAtIterB=-1 numReadsIterB=1 skipReadsIterB=1 readsPerIterB=1 */


/* iter 1 */

/*  grEndMfmaIndex:6, lwStartMfmaIndex:13, lwEndMfmaIndex:13  */
/*  numMfmaForLR:1, barrierMfmaIndex:14, LocalWritePerMfma:9.000 */
/*  mfmaIndex:2  */
_ds_load_b128 v[vgprValuA_X4_I0+0:vgprValuA_X4_I0+0+3], v[vgprLocalReadAddrA] offset:128 // L -> Reg lro=16 swapByteOffset=0 ti=128 vIdx=0 rIdx=0 oIdx=0 buffer=4 iui=0
_ds_load_b128 v[vgprValuB_X4_I0+0:vgprValuB_X4_I0+0+3], v[vgprLocalReadAddrB] offset:128 // L -> Reg lro=16 swapByteOffset=0 ti=16 vIdx=0 rIdx=0 oIdx=0 buffer=4 iui=0
_v_addc_co_u32 v[vgprGlobalReadAddrA+2+1], vcc, v[vgprGlobalReadAddrA+2+1], v[vgprGlobalReadIncsA+0+1], vcc // gra += incAL (upper)
_v_add_co_u32  v[vgprGlobalReadAddrA+4+0], vcc, v[vgprGlobalReadAddrA+4+0], v[vgprGlobalReadIncsA+0+0] // gra += incAL (lower)
_v_addc_co_u32 v[vgprGlobalReadAddrA+4+1], vcc, v[vgprGlobalReadAddrA+4+1], v[vgprGlobalReadIncsA+0+1], vcc // gra += incAL (upper)
s_waitcnt lgkmcnt(5)                               // lgkmcnt=0 vmcnt=-1wait for prior local read local write old=0, new=5 newLW=0 newLR=5
v_mfma_f64_16x16x4_f64 a[0+0:7+0], v[vgprValuB_X0_I0+0+2+0:vgprValuB_X0_I0+0+2+0+1], v[vgprValuA_X0_I0+0+2+0:vgprValuA_X0_I0+0+2+0+1], a[0:7]
/*  mfmaIndex:3  */
_ds_load_b128 v[vgprValuA_X4_I0+4:vgprValuA_X4_I0+4+3], v[vgprLocalReadAddrA] offset:416 // L -> Reg lro=16 swapByteOffset=0 ti=128 vIdx=0 rIdx=0 oIdx=0 buffer=4 iui=0
/* localReadsVacancy: latencyLeft 1 */
_v_add_co_u32  v[vgprGlobalReadAddrA+6+0], vcc, v[vgprGlobalReadAddrA+6+0], v[vgprGlobalReadIncsA+0+0] // gra += incAL (lower)
_v_addc_co_u32 v[vgprGlobalReadAddrA+6+1], vcc, v[vgprGlobalReadAddrA+6+1], v[vgprGlobalReadIncsA+0+1], vcc // gra += incAL (upper)
_v_add_co_u32  v[vgprGlobalReadAddrA+8+0], vcc, v[vgprGlobalReadAddrA+8+0], v[vgprGlobalReadIncsA+0+0] // gra += incAL (lower)
v_mfma_f64_16x16x4_f64 a[8+0:15+0], v[vgprValuB_X0_I0+0+2+0:vgprValuB_X0_I0+0+2+0+1], v[vgprValuA_X0_I0+4+2+0:vgprValuA_X0_I0+4+2+0+1], a[8:15]
/* numPrefetchIter=0 */
/* dataAtIterA=-1 numReadsIterA=2 skipReadsIterA=2 readsPerIterA=2 */
/* dataAtIterB=-1 numReadsIterB=2 skipReadsIterB=2 readsPerIterB=1 */


/* iter 2 */

/*  grEndMfmaIndex:6, lwStartMfmaIndex:13, lwEndMfmaIndex:13  */
/*  numMfmaForLR:1, barrierMfmaIndex:14, LocalWritePerMfma:9.000 */
/*  mfmaIndex:4  */
_ds_load_b128 v[vgprValuA_X6_I0+0:vgprValuA_X6_I0+0+3], v[vgprLocalReadAddrA] offset:192 // L -> Reg lro=24 swapByteOffset=0 ti=128 vIdx=0 rIdx=0 oIdx=0 buffer=6 iui=0
_ds_load_b128 v[vgprValuB_X6_I0+0:vgprValuB_X6_I0+0+3], v[vgprLocalReadAddrB] offset:192 // L -> Reg lro=24 swapByteOffset=0 ti=16 vIdx=0 rIdx=0 oIdx=0 buffer=6 iui=0
_v_addc_co_u32 v[vgprGlobalReadAddrA+8+1], vcc, v[vgprGlobalReadAddrA+8+1], v[vgprGlobalReadIncsA+0+1], vcc // gra += incAL (upper)
_v_add_co_u32  v[vgprGlobalReadAddrA+10+0], vcc, v[vgprGlobalReadAddrA+10+0], v[vgprGlobalReadIncsA+0+0] // gra += incAL (lower)
_v_addc_co_u32 v[vgprGlobalReadAddrA+10+1], vcc, v[vgprGlobalReadAddrA+10+1], v[vgprGlobalReadIncsA+0+1], vcc // gra += incAL (upper)
s_waitcnt lgkmcnt(5)                               // lgkmcnt=0 vmcnt=-1wait for prior local read local write old=0, new=5 newLW=0 newLR=5
v_mfma_f64_16x16x4_f64 a[0+0:7+0], v[vgprValuB_X2_I0+0+0+0:vgprValuB_X2_I0+0+0+0+1], v[vgprValuA_X2_I0+0+0+0:vgprValuA_X2_I0+0+0+0+1], a[0:7]
/*  mfmaIndex:5  */
_ds_load_b128 v[vgprValuA_X6_I0+4:vgprValuA_X6_I0+4+3], v[vgprLocalReadAddrA] offset:480 // L -> Reg lro=24 swapByteOffset=0 ti=128 vIdx=0 rIdx=0 oIdx=0 buffer=6 iui=0
/* localReadsVacancy: latencyLeft 1 */
_v_add_co_u32  v[vgprGlobalReadAddrA+12+0], vcc, v[vgprGlobalReadAddrA+12+0], v[vgprGlobalReadIncsA+0+0] // gra += incAL (lower)
_v_addc_co_u32 v[vgprGlobalReadAddrA+12+1], vcc, v[vgprGlobalReadAddrA+12+1], v[vgprGlobalReadIncsA+0+1], vcc // gra += incAL (upper)
_v_add_co_u32  v[vgprGlobalReadAddrA+14+0], vcc, v[vgprGlobalReadAddrA+14+0], v[vgprGlobalReadIncsA+0+0] // gra += incAL (lower)
v_mfma_f64_16x16x4_f64 a[8+0:15+0], v[vgprValuB_X2_I0+0+0+0:vgprValuB_X2_I0+0+0+0+1], v[vgprValuA_X2_I0+4+0+0:vgprValuA_X2_I0+4+0+0+1], a[8:15]
/* numPrefetchIter=0 */
/* dataAtIterA=0 numReadsIterA=3 skipReadsIterA=2 readsPerIterA=2 */
/* dataAtIterB=0 numReadsIterB=3 skipReadsIterB=2 readsPerIterB=1 */


/* iter 3 */

/*  grEndMfmaIndex:6, lwStartMfmaIndex:13, lwEndMfmaIndex:13  */
/*  numMfmaForLR:1, barrierMfmaIndex:14, LocalWritePerMfma:9.000 */
/*  mfmaIndex:6  */
/* localReadsVacancy: latencyLeft 5 */
_v_addc_co_u32 v[vgprGlobalReadAddrA+14+1], vcc, v[vgprGlobalReadAddrA+14+1], v[vgprGlobalReadIncsA+0+1], vcc // gra += incAL (upper)

/* global read inc B loopL */
_v_add_co_u32  v[vgprGlobalReadAddrB+0+0], vcc, v[vgprGlobalReadAddrB+0+0], v[vgprGlobalReadIncsB+0+0] // gra += incBL (lower)
_v_addc_co_u32 v[vgprGlobalReadAddrB+0+1], vcc, v[vgprGlobalReadAddrB+0+1], v[vgprGlobalReadIncsB+0+1], vcc // gra += incBL (upper)
s_waitcnt lgkmcnt(6)                               // lgkmcnt=0 vmcnt=-1wait for prior local read local write old=0, new=6 newLW=0 newLR=6
v_mfma_f64_16x16x4_f64 a[0+0:7+0], v[vgprValuB_X2_I0+0+2+0:vgprValuB_X2_I0+0+2+0+1], v[vgprValuA_X2_I0+0+2+0:vgprValuA_X2_I0+0+2+0+1], a[0:7]
/*  mfmaIndex:7  */
/* localReadsVacancy: latencyLeft 5 */
v_mfma_f64_16x16x4_f64 a[8+0:15+0], v[vgprValuB_X2_I0+0+2+0:vgprValuB_X2_I0+0+2+0+1], v[vgprValuA_X2_I0+4+2+0:vgprValuA_X2_I0+4+2+0+1], a[8:15]
/* numPrefetchIter=0 */
/* dataAtIterA=0 numReadsIterA=3 skipReadsIterA=2 readsPerIterA=2 */
/* dataAtIterB=0 numReadsIterB=3 skipReadsIterB=2 readsPerIterB=1 */


/* iter 4 */

/*  grEndMfmaIndex:6, lwStartMfmaIndex:13, lwEndMfmaIndex:13  */
/*  numMfmaForLR:1, barrierMfmaIndex:14, LocalWritePerMfma:9.000 */
/*  mfmaIndex:8  */
/* localReadsVacancy: latencyLeft 5 */
s_waitcnt lgkmcnt(3)                               // lgkmcnt=0 vmcnt=-1wait for prior local read local write old=0, new=3 newLW=0 newLR=3
v_mfma_f64_16x16x4_f64 a[0+0:7+0], v[vgprValuB_X4_I0+0+0+0:vgprValuB_X4_I0+0+0+0+1], v[vgprValuA_X4_I0+0+0+0:vgprValuA_X4_I0+0+0+0+1], a[0:7]
/*  mfmaIndex:9  */
/* localReadsVacancy: latencyLeft 5 */
v_mfma_f64_16x16x4_f64 a[8+0:15+0], v[vgprValuB_X4_I0+0+0+0:vgprValuB_X4_I0+0+0+0+1], v[vgprValuA_X4_I0+4+0+0:vgprValuA_X4_I0+4+0+0+1], a[8:15]
/* numPrefetchIter=0 */
/* dataAtIterA=1 numReadsIterA=3 skipReadsIterA=1 readsPerIterA=2 */
/* dataAtIterB=1 numReadsIterB=3 skipReadsIterB=1 readsPerIterB=1 */


/* iter 5 */

/*  grEndMfmaIndex:6, lwStartMfmaIndex:13, lwEndMfmaIndex:13  */
/*  numMfmaForLR:1, barrierMfmaIndex:14, LocalWritePerMfma:9.000 */
/*  mfmaIndex:10  */
/* localReadsVacancy: latencyLeft 5 */
s_waitcnt lgkmcnt(3)                               // lgkmcnt=0 vmcnt=-1wait for prior local read local write old=0, new=3 newLW=0 newLR=3
v_mfma_f64_16x16x4_f64 a[0+0:7+0], v[vgprValuB_X4_I0+0+2+0:vgprValuB_X4_I0+0+2+0+1], v[vgprValuA_X4_I0+0+2+0:vgprValuA_X4_I0+0+2+0+1], a[0:7]
/*  mfmaIndex:11  */
/* localReadsVacancy: latencyLeft 5 */
v_mfma_f64_16x16x4_f64 a[8+0:15+0], v[vgprValuB_X4_I0+0+2+0:vgprValuB_X4_I0+0+2+0+1], v[vgprValuA_X4_I0+4+2+0:vgprValuA_X4_I0+4+2+0+1], a[8:15]
/* numPrefetchIter=0 */
/* dataAtIterA=1 numReadsIterA=3 skipReadsIterA=1 readsPerIterA=2 */
/* dataAtIterB=1 numReadsIterB=3 skipReadsIterB=1 readsPerIterB=1 */


/* iter 6 (reset local read pointers iteration)  (swap and reset local write pointers iteration)  (swap local read pointers iteration)  */

/*  grEndMfmaIndex:6, lwStartMfmaIndex:13, lwEndMfmaIndex:13  */
/*  numMfmaForLR:1, barrierMfmaIndex:14, LocalWritePerMfma:9.000 */
/*  mfmaIndex:12  */
/* localReadsVacancy: latencyLeft 5 */
/* 1 LDS buffer: read-sync-write */
s_waitcnt lgkmcnt(0)                               // 
s_barrier                                          // 
s_waitcnt lgkmcnt(0)                               // lgkmcnt=0 vmcnt=-1wait for prior local read local write old=0, new=0 newLW=0 newLR=0
v_mfma_f64_16x16x4_f64 a[0+0:7+0], v[vgprValuB_X6_I0+0+0+0:vgprValuB_X6_I0+0+0+0+1], v[vgprValuA_X6_I0+0+0+0:vgprValuA_X6_I0+0+0+0+1], a[0:7]
/*  mfmaIndex:13  */
s_setprio 3                                        // store optimization
/* sched write - iter 6 writesPerItem=1 */
s_waitcnt vmcnt(0)                                 // lgkmcnt=-1 vmcnt=0wait for global read before writing to local
_ds_store_b128 v[vgprLocalWriteAddrA], v[vgprG2LA+0:vgprG2LA+0+3] offset:0 // lwoA_0_0_0_0 = (0*LSCA)*(MT0I+PAD) + (0*LSPA) = 0
_global_load_b128 v[vgprG2LA+0:vgprG2LA+0+3], v[vgprGlobalReadAddrA+0:vgprGlobalReadAddrA+0+1], off, offset:0 // G -> Reg 0_0_0_0
/* sched write - iter 6 writesPerItem=1 */
s_waitcnt vmcnt(0)                                 // lgkmcnt=-1 vmcnt=0wait for global read before writing to local
_ds_store_b128 v[vgprLocalWriteAddrA], v[vgprG2LA+4:vgprG2LA+4+3] offset:4608 // lwoA_0_0_1_0 = (0*LSCA)*(MT0I+PAD) + (1*LSPA) = 4608
_global_load_b128 v[vgprG2LA+4:vgprG2LA+4+3], v[vgprGlobalReadAddrA+2:vgprGlobalReadAddrA+2+1], off, offset:0 // G -> Reg 0_0_1_0
/* sched write - iter 6 writesPerItem=1 */
s_waitcnt vmcnt(0)                                 // lgkmcnt=-1 vmcnt=0wait for global read before writing to local
_ds_store_b128 v[vgprLocalWriteAddrA], v[vgprG2LA+8:vgprG2LA+8+3] offset:9216 // lwoA_0_0_2_0 = (0*LSCA)*(MT0I+PAD) + (2*LSPA) = 9216
_global_load_b128 v[vgprG2LA+8:vgprG2LA+8+3], v[vgprGlobalReadAddrA+4:vgprGlobalReadAddrA+4+1], off, offset:0 // G -> Reg 0_0_2_0
/* sched write - iter 6 writesPerItem=1 */
s_waitcnt vmcnt(0)                                 // lgkmcnt=-1 vmcnt=0wait for global read before writing to local
_ds_store_b128 v[vgprLocalWriteAddrA], v[vgprG2LA+12:vgprG2LA+12+3] offset:13824 // lwoA_0_0_3_0 = (0*LSCA)*(MT0I+PAD) + (3*LSPA) = 13824
_global_load_b128 v[vgprG2LA+12:vgprG2LA+12+3], v[vgprGlobalReadAddrA+6:vgprGlobalReadAddrA+6+1], off, offset:0 // G -> Reg 0_0_3_0
/* sched write - iter 6 writesPerItem=1 */
s_waitcnt vmcnt(0)                                 // lgkmcnt=-1 vmcnt=0wait for global read before writing to local
_ds_store_b128 v[vgprLocalWriteAddrA], v[vgprG2LA+16:vgprG2LA+16+3] offset:18432 // lwoA_0_0_4_0 = (0*LSCA)*(MT0I+PAD) + (4*LSPA) = 18432
_global_load_b128 v[vgprG2LA+16:vgprG2LA+16+3], v[vgprGlobalReadAddrA+8:vgprGlobalReadAddrA+8+1], off, offset:0 // G -> Reg 0_0_4_0
/* sched write - iter 6 writesPerItem=1 */
s_waitcnt vmcnt(0)                                 // lgkmcnt=-1 vmcnt=0wait for global read before writing to local
_ds_store_b128 v[vgprLocalWriteAddrA], v[vgprG2LA+20:vgprG2LA+20+3] offset:23040 // lwoA_0_0_5_0 = (0*LSCA)*(MT0I+PAD) + (5*LSPA) = 23040
_global_load_b128 v[vgprG2LA+20:vgprG2LA+20+3], v[vgprGlobalReadAddrA+10:vgprGlobalReadAddrA+10+1], off, offset:0 // G -> Reg 0_0_5_0
/* sched write - iter 6 writesPerItem=1 */
s_waitcnt vmcnt(0)                                 // lgkmcnt=-1 vmcnt=0wait for global read before writing to local
_ds_store_b128 v[vgprLocalWriteAddrA], v[vgprG2LA+24:vgprG2LA+24+3] offset:27648 // lwoA_0_0_6_0 = (0*LSCA)*(MT0I+PAD) + (6*LSPA) = 27648
_global_load_b128 v[vgprG2LA+24:vgprG2LA+24+3], v[vgprGlobalReadAddrA+12:vgprGlobalReadAddrA+12+1], off, offset:0 // G -> Reg 0_0_6_0
/* sched write - iter 6 writesPerItem=1 */
s_waitcnt vmcnt(0)                                 // lgkmcnt=-1 vmcnt=0wait for global read before writing to local
_ds_store_b128 v[vgprLocalWriteAddrA], v[vgprG2LA+28:vgprG2LA+28+3] offset:32256 // lwoA_0_0_7_0 = (0*LSCA)*(MT0I+PAD) + (7*LSPA) = 32256
_global_load_b128 v[vgprG2LA+28:vgprG2LA+28+3], v[vgprGlobalReadAddrA+14:vgprGlobalReadAddrA+14+1], off, offset:0 // G -> Reg 0_0_7_0
/* sched write - iter 6 writesPerItem=1 */
s_waitcnt vmcnt(0)                                 // lgkmcnt=-1 vmcnt=0wait for global read before writing to local
_ds_store_b128 v[vgprLocalWriteAddrB], v[vgprG2LB+0:vgprG2LB+0+3] offset:0 // lwoB_0_0_0_0 = (0*LSCB)*(MT1J+PAD) + (0*LSPB) = 0
_global_load_b128 v[vgprG2LB+0:vgprG2LB+0+3], v[vgprGlobalReadAddrB+0:vgprGlobalReadAddrB+0+1], off, offset:0 // G -> Reg 0_0_0_0

/* local write swap offsets a */

/* local write swap offsets b */

/* local read swap offsets a */

/* local read swap offsets b */

/* local read init pointers a */

/* localReadInitPointers */

/* local read init pointers b */

/* localReadInitPointers */
v_mfma_f64_16x16x4_f64 a[8+0:15+0], v[vgprValuB_X6_I0+0+0+0:vgprValuB_X6_I0+0+0+0+1], v[vgprValuA_X6_I0+4+0+0:vgprValuA_X6_I0+4+0+0+1], a[8:15]
s_setprio 0                                        // store optimization
/* numPrefetchIter=0 */
/* dataAtIterA=2 numReadsIterA=3 skipReadsIterA=0 readsPerIterA=2 */
/* dataAtIterB=2 numReadsIterB=3 skipReadsIterB=0 readsPerIterB=1 */


/* iter 7 */

/*  grEndMfmaIndex:6, lwStartMfmaIndex:13, lwEndMfmaIndex:13  */
/*  numMfmaForLR:1, barrierMfmaIndex:14, LocalWritePerMfma:9.000 */
/*  mfmaIndex:14  */
s_waitcnt lgkmcnt(0)                               // lgkmcnt=0 vmcnt=-13wait for local write
// Skip force waitcnt0
s_barrier //
v_mfma_f64_16x16x4_f64 a[0+0:7+0], v[vgprValuB_X6_I0+0+2+0:vgprValuB_X6_I0+0+2+0+1], v[vgprValuA_X6_I0+0+2+0:vgprValuA_X6_I0+0+2+0+1], a[0:7]
/*  mfmaIndex:15  */
s_setprio 3                                        // store optimization
_ds_load_b128 v[vgprValuA_X0_I0+0:vgprValuA_X0_I0+0+3], v[vgprLocalReadAddrA] offset:0 // L -> Reg lro=0 swapByteOffset=0 ti=128 vIdx=0 rIdx=0 oIdx=0 buffer=0 iui=0
_ds_load_b128 v[vgprValuB_X0_I0+0:vgprValuB_X0_I0+0+3], v[vgprLocalReadAddrB] offset:0 // L -> Reg lro=0 swapByteOffset=0 ti=16 vIdx=0 rIdx=0 oIdx=0 buffer=0 iui=0
_ds_load_b128 v[vgprValuA_X0_I0+4:vgprValuA_X0_I0+4+3], v[vgprLocalReadAddrA] offset:288 // L -> Reg lro=0 swapByteOffset=0 ti=128 vIdx=0 rIdx=0 oIdx=0 buffer=0 iui=0
v_mfma_f64_16x16x4_f64 a[8+0:15+0], v[vgprValuB_X6_I0+0+2+0:vgprValuB_X6_I0+0+2+0+1], v[vgprValuA_X6_I0+4+2+0:vgprValuA_X6_I0+4+2+0+1], a[8:15]
s_setprio 0                                        // store optimization


/******************************************/
/* Unrolled Loop - End                    */
/******************************************/


/* closeLoop loopL finalLoop=1 tailLoop=0 */
s_sub_u32 s[sgprLoopCounterL], s[sgprLoopCounterL], 1 // dec counterL
s_cmp_eq_i32 s[sgprLoopCounterL], 0x2              // counterL==2
s_cbranch_scc0 LoopBeginL_1                        // restart LoopL
LoopEndL_2:


/* Before NLL: Check VGPR.checkin for INT8 LW */


/******************************************/
/* Ord. NoGlobalLoadLoop - Begin                                      */
/******************************************/


	;; [unrolled: 1-line block ×3, first 2 shown]
/* iter 0 */

/*  grEndMfmaIndex:6, lwStartMfmaIndex:13, lwEndMfmaIndex:13  */
/*  numMfmaForLR:1, barrierMfmaIndex:14, LocalWritePerMfma:9.000 */
/*  mfmaIndex:0  */
s_waitcnt lgkmcnt(0)                               // lgkmcnt=0 vmcnt=-1wait for prior local read local write old=0, new=0 newLW=0 newLR=0
v_mfma_f64_16x16x4_f64 a[0+0:7+0], v[vgprValuB_X0_I0+0+0+0:vgprValuB_X0_I0+0+0+0+1], v[vgprValuA_X0_I0+0+0+0:vgprValuA_X0_I0+0+0+0+1], a[0:7]
/*  mfmaIndex:1  */
_ds_load_b128 v[vgprValuA_X2_I0+0:vgprValuA_X2_I0+0+3], v[vgprLocalReadAddrA] offset:64 // L -> Reg lro=8 swapByteOffset=0 ti=128 vIdx=0 rIdx=0 oIdx=0 buffer=2 iui=0
_ds_load_b128 v[vgprValuB_X2_I0+0:vgprValuB_X2_I0+0+3], v[vgprLocalReadAddrB] offset:64 // L -> Reg lro=8 swapByteOffset=0 ti=16 vIdx=0 rIdx=0 oIdx=0 buffer=2 iui=0
_ds_load_b128 v[vgprValuA_X2_I0+4:vgprValuA_X2_I0+4+3], v[vgprLocalReadAddrA] offset:352 // L -> Reg lro=8 swapByteOffset=0 ti=128 vIdx=0 rIdx=0 oIdx=0 buffer=2 iui=0

/* global read inc A loopL */
_v_add_co_u32  v[vgprGlobalReadAddrA+0+0], vcc, v[vgprGlobalReadAddrA+0+0], v[vgprGlobalReadIncsA+0+0] // gra += incAL (lower)
_v_addc_co_u32 v[vgprGlobalReadAddrA+0+1], vcc, v[vgprGlobalReadAddrA+0+1], v[vgprGlobalReadIncsA+0+1], vcc // gra += incAL (upper)
_v_add_co_u32  v[vgprGlobalReadAddrA+2+0], vcc, v[vgprGlobalReadAddrA+2+0], v[vgprGlobalReadIncsA+0+0] // gra += incAL (lower)
v_mfma_f64_16x16x4_f64 a[8+0:15+0], v[vgprValuB_X0_I0+0+0+0:vgprValuB_X0_I0+0+0+0+1], v[vgprValuA_X0_I0+4+0+0:vgprValuA_X0_I0+4+0+0+1], a[8:15]
/* numPrefetchIter=0 */
/* dataAtIterA=-1 numReadsIterA=1 skipReadsIterA=1 readsPerIterA=2 */
/* dataAtIterB=-1 numReadsIterB=1 skipReadsIterB=1 readsPerIterB=1 */


/* iter 1 */

/*  grEndMfmaIndex:6, lwStartMfmaIndex:13, lwEndMfmaIndex:13  */
/*  numMfmaForLR:1, barrierMfmaIndex:14, LocalWritePerMfma:9.000 */
/*  mfmaIndex:2  */
_ds_load_b128 v[vgprValuA_X4_I0+0:vgprValuA_X4_I0+0+3], v[vgprLocalReadAddrA] offset:128 // L -> Reg lro=16 swapByteOffset=0 ti=128 vIdx=0 rIdx=0 oIdx=0 buffer=4 iui=0
_ds_load_b128 v[vgprValuB_X4_I0+0:vgprValuB_X4_I0+0+3], v[vgprLocalReadAddrB] offset:128 // L -> Reg lro=16 swapByteOffset=0 ti=16 vIdx=0 rIdx=0 oIdx=0 buffer=4 iui=0
_v_addc_co_u32 v[vgprGlobalReadAddrA+2+1], vcc, v[vgprGlobalReadAddrA+2+1], v[vgprGlobalReadIncsA+0+1], vcc // gra += incAL (upper)
_v_add_co_u32  v[vgprGlobalReadAddrA+4+0], vcc, v[vgprGlobalReadAddrA+4+0], v[vgprGlobalReadIncsA+0+0] // gra += incAL (lower)
_v_addc_co_u32 v[vgprGlobalReadAddrA+4+1], vcc, v[vgprGlobalReadAddrA+4+1], v[vgprGlobalReadIncsA+0+1], vcc // gra += incAL (upper)
s_waitcnt lgkmcnt(5)                               // lgkmcnt=0 vmcnt=-1wait for prior local read local write old=0, new=5 newLW=0 newLR=5
v_mfma_f64_16x16x4_f64 a[0+0:7+0], v[vgprValuB_X0_I0+0+2+0:vgprValuB_X0_I0+0+2+0+1], v[vgprValuA_X0_I0+0+2+0:vgprValuA_X0_I0+0+2+0+1], a[0:7]
/*  mfmaIndex:3  */
_ds_load_b128 v[vgprValuA_X4_I0+4:vgprValuA_X4_I0+4+3], v[vgprLocalReadAddrA] offset:416 // L -> Reg lro=16 swapByteOffset=0 ti=128 vIdx=0 rIdx=0 oIdx=0 buffer=4 iui=0
/* localReadsVacancy: latencyLeft 1 */
_v_add_co_u32  v[vgprGlobalReadAddrA+6+0], vcc, v[vgprGlobalReadAddrA+6+0], v[vgprGlobalReadIncsA+0+0] // gra += incAL (lower)
_v_addc_co_u32 v[vgprGlobalReadAddrA+6+1], vcc, v[vgprGlobalReadAddrA+6+1], v[vgprGlobalReadIncsA+0+1], vcc // gra += incAL (upper)
_v_add_co_u32  v[vgprGlobalReadAddrA+8+0], vcc, v[vgprGlobalReadAddrA+8+0], v[vgprGlobalReadIncsA+0+0] // gra += incAL (lower)
v_mfma_f64_16x16x4_f64 a[8+0:15+0], v[vgprValuB_X0_I0+0+2+0:vgprValuB_X0_I0+0+2+0+1], v[vgprValuA_X0_I0+4+2+0:vgprValuA_X0_I0+4+2+0+1], a[8:15]
/* numPrefetchIter=0 */
/* dataAtIterA=-1 numReadsIterA=2 skipReadsIterA=2 readsPerIterA=2 */
/* dataAtIterB=-1 numReadsIterB=2 skipReadsIterB=2 readsPerIterB=1 */


/* iter 2 */

/*  grEndMfmaIndex:6, lwStartMfmaIndex:13, lwEndMfmaIndex:13  */
/*  numMfmaForLR:1, barrierMfmaIndex:14, LocalWritePerMfma:9.000 */
/*  mfmaIndex:4  */
_ds_load_b128 v[vgprValuA_X6_I0+0:vgprValuA_X6_I0+0+3], v[vgprLocalReadAddrA] offset:192 // L -> Reg lro=24 swapByteOffset=0 ti=128 vIdx=0 rIdx=0 oIdx=0 buffer=6 iui=0
_ds_load_b128 v[vgprValuB_X6_I0+0:vgprValuB_X6_I0+0+3], v[vgprLocalReadAddrB] offset:192 // L -> Reg lro=24 swapByteOffset=0 ti=16 vIdx=0 rIdx=0 oIdx=0 buffer=6 iui=0
_v_addc_co_u32 v[vgprGlobalReadAddrA+8+1], vcc, v[vgprGlobalReadAddrA+8+1], v[vgprGlobalReadIncsA+0+1], vcc // gra += incAL (upper)
_v_add_co_u32  v[vgprGlobalReadAddrA+10+0], vcc, v[vgprGlobalReadAddrA+10+0], v[vgprGlobalReadIncsA+0+0] // gra += incAL (lower)
_v_addc_co_u32 v[vgprGlobalReadAddrA+10+1], vcc, v[vgprGlobalReadAddrA+10+1], v[vgprGlobalReadIncsA+0+1], vcc // gra += incAL (upper)
s_waitcnt lgkmcnt(5)                               // lgkmcnt=0 vmcnt=-1wait for prior local read local write old=0, new=5 newLW=0 newLR=5
v_mfma_f64_16x16x4_f64 a[0+0:7+0], v[vgprValuB_X2_I0+0+0+0:vgprValuB_X2_I0+0+0+0+1], v[vgprValuA_X2_I0+0+0+0:vgprValuA_X2_I0+0+0+0+1], a[0:7]
/*  mfmaIndex:5  */
_ds_load_b128 v[vgprValuA_X6_I0+4:vgprValuA_X6_I0+4+3], v[vgprLocalReadAddrA] offset:480 // L -> Reg lro=24 swapByteOffset=0 ti=128 vIdx=0 rIdx=0 oIdx=0 buffer=6 iui=0
/* localReadsVacancy: latencyLeft 1 */
_v_add_co_u32  v[vgprGlobalReadAddrA+12+0], vcc, v[vgprGlobalReadAddrA+12+0], v[vgprGlobalReadIncsA+0+0] // gra += incAL (lower)
_v_addc_co_u32 v[vgprGlobalReadAddrA+12+1], vcc, v[vgprGlobalReadAddrA+12+1], v[vgprGlobalReadIncsA+0+1], vcc // gra += incAL (upper)
_v_add_co_u32  v[vgprGlobalReadAddrA+14+0], vcc, v[vgprGlobalReadAddrA+14+0], v[vgprGlobalReadIncsA+0+0] // gra += incAL (lower)
v_mfma_f64_16x16x4_f64 a[8+0:15+0], v[vgprValuB_X2_I0+0+0+0:vgprValuB_X2_I0+0+0+0+1], v[vgprValuA_X2_I0+4+0+0:vgprValuA_X2_I0+4+0+0+1], a[8:15]
/* numPrefetchIter=0 */
/* dataAtIterA=0 numReadsIterA=3 skipReadsIterA=2 readsPerIterA=2 */
/* dataAtIterB=0 numReadsIterB=3 skipReadsIterB=2 readsPerIterB=1 */


/* iter 3 */

/*  grEndMfmaIndex:6, lwStartMfmaIndex:13, lwEndMfmaIndex:13  */
/*  numMfmaForLR:1, barrierMfmaIndex:14, LocalWritePerMfma:9.000 */
/*  mfmaIndex:6  */
/* localReadsVacancy: latencyLeft 5 */
_v_addc_co_u32 v[vgprGlobalReadAddrA+14+1], vcc, v[vgprGlobalReadAddrA+14+1], v[vgprGlobalReadIncsA+0+1], vcc // gra += incAL (upper)

/* global read inc B loopL */
_v_add_co_u32  v[vgprGlobalReadAddrB+0+0], vcc, v[vgprGlobalReadAddrB+0+0], v[vgprGlobalReadIncsB+0+0] // gra += incBL (lower)
_v_addc_co_u32 v[vgprGlobalReadAddrB+0+1], vcc, v[vgprGlobalReadAddrB+0+1], v[vgprGlobalReadIncsB+0+1], vcc // gra += incBL (upper)
s_waitcnt lgkmcnt(6)                               // lgkmcnt=0 vmcnt=-1wait for prior local read local write old=0, new=6 newLW=0 newLR=6
v_mfma_f64_16x16x4_f64 a[0+0:7+0], v[vgprValuB_X2_I0+0+2+0:vgprValuB_X2_I0+0+2+0+1], v[vgprValuA_X2_I0+0+2+0:vgprValuA_X2_I0+0+2+0+1], a[0:7]
/*  mfmaIndex:7  */
/* localReadsVacancy: latencyLeft 5 */
v_mfma_f64_16x16x4_f64 a[8+0:15+0], v[vgprValuB_X2_I0+0+2+0:vgprValuB_X2_I0+0+2+0+1], v[vgprValuA_X2_I0+4+2+0:vgprValuA_X2_I0+4+2+0+1], a[8:15]
/* numPrefetchIter=0 */
/* dataAtIterA=0 numReadsIterA=3 skipReadsIterA=2 readsPerIterA=2 */
/* dataAtIterB=0 numReadsIterB=3 skipReadsIterB=2 readsPerIterB=1 */


/* iter 4 */

/*  grEndMfmaIndex:6, lwStartMfmaIndex:13, lwEndMfmaIndex:13  */
/*  numMfmaForLR:1, barrierMfmaIndex:14, LocalWritePerMfma:9.000 */
/*  mfmaIndex:8  */
/* localReadsVacancy: latencyLeft 5 */
s_waitcnt lgkmcnt(3)                               // lgkmcnt=0 vmcnt=-1wait for prior local read local write old=0, new=3 newLW=0 newLR=3
v_mfma_f64_16x16x4_f64 a[0+0:7+0], v[vgprValuB_X4_I0+0+0+0:vgprValuB_X4_I0+0+0+0+1], v[vgprValuA_X4_I0+0+0+0:vgprValuA_X4_I0+0+0+0+1], a[0:7]
/*  mfmaIndex:9  */
/* localReadsVacancy: latencyLeft 5 */
v_mfma_f64_16x16x4_f64 a[8+0:15+0], v[vgprValuB_X4_I0+0+0+0:vgprValuB_X4_I0+0+0+0+1], v[vgprValuA_X4_I0+4+0+0:vgprValuA_X4_I0+4+0+0+1], a[8:15]
/* numPrefetchIter=0 */
/* dataAtIterA=1 numReadsIterA=3 skipReadsIterA=1 readsPerIterA=2 */
/* dataAtIterB=1 numReadsIterB=3 skipReadsIterB=1 readsPerIterB=1 */


/* iter 5 */

/*  grEndMfmaIndex:6, lwStartMfmaIndex:13, lwEndMfmaIndex:13  */
/*  numMfmaForLR:1, barrierMfmaIndex:14, LocalWritePerMfma:9.000 */
/*  mfmaIndex:10  */
/* localReadsVacancy: latencyLeft 5 */
s_waitcnt lgkmcnt(3)                               // lgkmcnt=0 vmcnt=-1wait for prior local read local write old=0, new=3 newLW=0 newLR=3
v_mfma_f64_16x16x4_f64 a[0+0:7+0], v[vgprValuB_X4_I0+0+2+0:vgprValuB_X4_I0+0+2+0+1], v[vgprValuA_X4_I0+0+2+0:vgprValuA_X4_I0+0+2+0+1], a[0:7]
/*  mfmaIndex:11  */
/* localReadsVacancy: latencyLeft 5 */
v_mfma_f64_16x16x4_f64 a[8+0:15+0], v[vgprValuB_X4_I0+0+2+0:vgprValuB_X4_I0+0+2+0+1], v[vgprValuA_X4_I0+4+2+0:vgprValuA_X4_I0+4+2+0+1], a[8:15]
/* numPrefetchIter=0 */
/* dataAtIterA=1 numReadsIterA=3 skipReadsIterA=1 readsPerIterA=2 */
/* dataAtIterB=1 numReadsIterB=3 skipReadsIterB=1 readsPerIterB=1 */


/* iter 6 (reset local read pointers iteration)  (swap and reset local write pointers iteration)  (swap local read pointers iteration)  */

/*  grEndMfmaIndex:6, lwStartMfmaIndex:13, lwEndMfmaIndex:13  */
/*  numMfmaForLR:1, barrierMfmaIndex:14, LocalWritePerMfma:9.000 */
/*  mfmaIndex:12  */
/* localReadsVacancy: latencyLeft 5 */
/* 1 LDS buffer: read-sync-write */
s_waitcnt lgkmcnt(0)                               // 
s_barrier                                          // 
s_waitcnt lgkmcnt(0)                               // lgkmcnt=0 vmcnt=-1wait for prior local read local write old=0, new=0 newLW=0 newLR=0
v_mfma_f64_16x16x4_f64 a[0+0:7+0], v[vgprValuB_X6_I0+0+0+0:vgprValuB_X6_I0+0+0+0+1], v[vgprValuA_X6_I0+0+0+0:vgprValuA_X6_I0+0+0+0+1], a[0:7]
/*  mfmaIndex:13  */
s_setprio 3                                        // store optimization
/* sched write - iter 6 writesPerItem=1 */
s_waitcnt vmcnt(0)                                 // lgkmcnt=-1 vmcnt=0wait for global read before writing to local
_ds_store_b128 v[vgprLocalWriteAddrA], v[vgprG2LA+0:vgprG2LA+0+3] offset:0 // lwoA_0_0_0_0 = (0*LSCA)*(MT0I+PAD) + (0*LSPA) = 0
/* sched write - iter 6 writesPerItem=1 */
s_waitcnt vmcnt(0)                                 // lgkmcnt=-1 vmcnt=0wait for global read before writing to local
_ds_store_b128 v[vgprLocalWriteAddrA], v[vgprG2LA+4:vgprG2LA+4+3] offset:4608 // lwoA_0_0_1_0 = (0*LSCA)*(MT0I+PAD) + (1*LSPA) = 4608
/* sched write - iter 6 writesPerItem=1 */
s_waitcnt vmcnt(0)                                 // lgkmcnt=-1 vmcnt=0wait for global read before writing to local
_ds_store_b128 v[vgprLocalWriteAddrA], v[vgprG2LA+8:vgprG2LA+8+3] offset:9216 // lwoA_0_0_2_0 = (0*LSCA)*(MT0I+PAD) + (2*LSPA) = 9216
/* sched write - iter 6 writesPerItem=1 */
s_waitcnt vmcnt(0)                                 // lgkmcnt=-1 vmcnt=0wait for global read before writing to local
_ds_store_b128 v[vgprLocalWriteAddrA], v[vgprG2LA+12:vgprG2LA+12+3] offset:13824 // lwoA_0_0_3_0 = (0*LSCA)*(MT0I+PAD) + (3*LSPA) = 13824
/* sched write - iter 6 writesPerItem=1 */
s_waitcnt vmcnt(0)                                 // lgkmcnt=-1 vmcnt=0wait for global read before writing to local
_ds_store_b128 v[vgprLocalWriteAddrA], v[vgprG2LA+16:vgprG2LA+16+3] offset:18432 // lwoA_0_0_4_0 = (0*LSCA)*(MT0I+PAD) + (4*LSPA) = 18432
/* sched write - iter 6 writesPerItem=1 */
s_waitcnt vmcnt(0)                                 // lgkmcnt=-1 vmcnt=0wait for global read before writing to local
_ds_store_b128 v[vgprLocalWriteAddrA], v[vgprG2LA+20:vgprG2LA+20+3] offset:23040 // lwoA_0_0_5_0 = (0*LSCA)*(MT0I+PAD) + (5*LSPA) = 23040
/* sched write - iter 6 writesPerItem=1 */
s_waitcnt vmcnt(0)                                 // lgkmcnt=-1 vmcnt=0wait for global read before writing to local
_ds_store_b128 v[vgprLocalWriteAddrA], v[vgprG2LA+24:vgprG2LA+24+3] offset:27648 // lwoA_0_0_6_0 = (0*LSCA)*(MT0I+PAD) + (6*LSPA) = 27648
/* sched write - iter 6 writesPerItem=1 */
s_waitcnt vmcnt(0)                                 // lgkmcnt=-1 vmcnt=0wait for global read before writing to local
_ds_store_b128 v[vgprLocalWriteAddrA], v[vgprG2LA+28:vgprG2LA+28+3] offset:32256 // lwoA_0_0_7_0 = (0*LSCA)*(MT0I+PAD) + (7*LSPA) = 32256
/* sched write - iter 6 writesPerItem=1 */
s_waitcnt vmcnt(0)                                 // lgkmcnt=-1 vmcnt=0wait for global read before writing to local
_ds_store_b128 v[vgprLocalWriteAddrB], v[vgprG2LB+0:vgprG2LB+0+3] offset:0 // lwoB_0_0_0_0 = (0*LSCB)*(MT1J+PAD) + (0*LSPB) = 0

/* local write swap offsets a */

/* local write swap offsets b */

/* local read swap offsets a */

/* local read swap offsets b */

/* local read init pointers a */

/* localReadInitPointers */

/* local read init pointers b */

/* localReadInitPointers */
v_mfma_f64_16x16x4_f64 a[8+0:15+0], v[vgprValuB_X6_I0+0+0+0:vgprValuB_X6_I0+0+0+0+1], v[vgprValuA_X6_I0+4+0+0:vgprValuA_X6_I0+4+0+0+1], a[8:15]
s_setprio 0                                        // store optimization
/* numPrefetchIter=0 */
/* dataAtIterA=2 numReadsIterA=3 skipReadsIterA=0 readsPerIterA=2 */
/* dataAtIterB=2 numReadsIterB=3 skipReadsIterB=0 readsPerIterB=1 */


/* iter 7 */

/*  grEndMfmaIndex:6, lwStartMfmaIndex:13, lwEndMfmaIndex:13  */
/*  numMfmaForLR:1, barrierMfmaIndex:14, LocalWritePerMfma:9.000 */
/*  mfmaIndex:14  */
s_waitcnt lgkmcnt(0)                               // lgkmcnt=0 vmcnt=-13wait for local write
// Skip force waitcnt0
s_barrier //
v_mfma_f64_16x16x4_f64 a[0+0:7+0], v[vgprValuB_X6_I0+0+2+0:vgprValuB_X6_I0+0+2+0+1], v[vgprValuA_X6_I0+0+2+0:vgprValuA_X6_I0+0+2+0+1], a[0:7]
/*  mfmaIndex:15  */
s_setprio 3                                        // store optimization
_ds_load_b128 v[vgprValuA_X0_I0+0:vgprValuA_X0_I0+0+3], v[vgprLocalReadAddrA] offset:0 // L -> Reg lro=0 swapByteOffset=0 ti=128 vIdx=0 rIdx=0 oIdx=0 buffer=0 iui=0
_ds_load_b128 v[vgprValuB_X0_I0+0:vgprValuB_X0_I0+0+3], v[vgprLocalReadAddrB] offset:0 // L -> Reg lro=0 swapByteOffset=0 ti=16 vIdx=0 rIdx=0 oIdx=0 buffer=0 iui=0
_ds_load_b128 v[vgprValuA_X0_I0+4:vgprValuA_X0_I0+4+3], v[vgprLocalReadAddrA] offset:288 // L -> Reg lro=0 swapByteOffset=0 ti=128 vIdx=0 rIdx=0 oIdx=0 buffer=0 iui=0
v_mfma_f64_16x16x4_f64 a[8+0:15+0], v[vgprValuB_X6_I0+0+2+0:vgprValuB_X6_I0+0+2+0+1], v[vgprValuA_X6_I0+4+2+0:vgprValuA_X6_I0+4+2+0+1], a[8:15]
s_setprio 0                                        // store optimization

label_0014:


/******************************************/
/* Ord. NoLoadLoop - Begin                                      */
/******************************************/


	;; [unrolled: 1-line block ×4, first 2 shown]
/* iter 0 (last unrolled loop) */

/*  grEndMfmaIndex:0, lwStartMfmaIndex:13, lwEndMfmaIndex:13  */
/*  numMfmaForLR:1, barrierMfmaIndex:14, LocalWritePerMfma:9.000 */
/*  mfmaIndex:0  */
s_waitcnt lgkmcnt(0)                               // lgkmcnt=0 vmcnt=-1wait for prior local read local write old=0, new=0 newLW=0 newLR=0
v_mfma_f64_16x16x4_f64 a[0+0:7+0], v[vgprValuB_X0_I0+0+0+0:vgprValuB_X0_I0+0+0+0+1], v[vgprValuA_X0_I0+0+0+0:vgprValuA_X0_I0+0+0+0+1], a[0:7]
/*  mfmaIndex:1  */
_ds_load_b128 v[vgprValuA_X2_I0+0:vgprValuA_X2_I0+0+3], v[vgprLocalReadAddrA] offset:64 // L -> Reg lro=8 swapByteOffset=0 ti=128 vIdx=0 rIdx=0 oIdx=0 buffer=2 iui=0
_ds_load_b128 v[vgprValuB_X2_I0+0:vgprValuB_X2_I0+0+3], v[vgprLocalReadAddrB] offset:64 // L -> Reg lro=8 swapByteOffset=0 ti=16 vIdx=0 rIdx=0 oIdx=0 buffer=2 iui=0
_ds_load_b128 v[vgprValuA_X2_I0+4:vgprValuA_X2_I0+4+3], v[vgprLocalReadAddrA] offset:352 // L -> Reg lro=8 swapByteOffset=0 ti=128 vIdx=0 rIdx=0 oIdx=0 buffer=2 iui=0
v_mfma_f64_16x16x4_f64 a[8+0:15+0], v[vgprValuB_X0_I0+0+0+0:vgprValuB_X0_I0+0+0+0+1], v[vgprValuA_X0_I0+4+0+0:vgprValuA_X0_I0+4+0+0+1], a[8:15]
/* numPrefetchIter=0 */
/* dataAtIterA=-1 numReadsIterA=1 skipReadsIterA=1 readsPerIterA=2 */
/* dataAtIterB=-1 numReadsIterB=1 skipReadsIterB=1 readsPerIterB=1 */


/* iter 1 (last unrolled loop) */

/*  grEndMfmaIndex:0, lwStartMfmaIndex:13, lwEndMfmaIndex:13  */
/*  numMfmaForLR:1, barrierMfmaIndex:14, LocalWritePerMfma:9.000 */
/*  mfmaIndex:2  */
_ds_load_b128 v[vgprValuA_X4_I0+0:vgprValuA_X4_I0+0+3], v[vgprLocalReadAddrA] offset:128 // L -> Reg lro=16 swapByteOffset=0 ti=128 vIdx=0 rIdx=0 oIdx=0 buffer=4 iui=0
_ds_load_b128 v[vgprValuB_X4_I0+0:vgprValuB_X4_I0+0+3], v[vgprLocalReadAddrB] offset:128 // L -> Reg lro=16 swapByteOffset=0 ti=16 vIdx=0 rIdx=0 oIdx=0 buffer=4 iui=0
s_waitcnt lgkmcnt(5)                               // lgkmcnt=0 vmcnt=-1wait for prior local read local write old=0, new=5 newLW=0 newLR=5
v_mfma_f64_16x16x4_f64 a[0+0:7+0], v[vgprValuB_X0_I0+0+2+0:vgprValuB_X0_I0+0+2+0+1], v[vgprValuA_X0_I0+0+2+0:vgprValuA_X0_I0+0+2+0+1], a[0:7]
/*  mfmaIndex:3  */
_ds_load_b128 v[vgprValuA_X4_I0+4:vgprValuA_X4_I0+4+3], v[vgprLocalReadAddrA] offset:416 // L -> Reg lro=16 swapByteOffset=0 ti=128 vIdx=0 rIdx=0 oIdx=0 buffer=4 iui=0
/* localReadsVacancy: latencyLeft 1 */
v_mfma_f64_16x16x4_f64 a[8+0:15+0], v[vgprValuB_X0_I0+0+2+0:vgprValuB_X0_I0+0+2+0+1], v[vgprValuA_X0_I0+4+2+0:vgprValuA_X0_I0+4+2+0+1], a[8:15]
/* numPrefetchIter=0 */
/* dataAtIterA=-1 numReadsIterA=2 skipReadsIterA=2 readsPerIterA=2 */
/* dataAtIterB=-1 numReadsIterB=2 skipReadsIterB=2 readsPerIterB=1 */


/* iter 2 (last unrolled loop) */

/*  grEndMfmaIndex:0, lwStartMfmaIndex:13, lwEndMfmaIndex:13  */
/*  numMfmaForLR:1, barrierMfmaIndex:14, LocalWritePerMfma:9.000 */
/*  mfmaIndex:4  */
_ds_load_b128 v[vgprValuA_X6_I0+0:vgprValuA_X6_I0+0+3], v[vgprLocalReadAddrA] offset:192 // L -> Reg lro=24 swapByteOffset=0 ti=128 vIdx=0 rIdx=0 oIdx=0 buffer=6 iui=0
_ds_load_b128 v[vgprValuB_X6_I0+0:vgprValuB_X6_I0+0+3], v[vgprLocalReadAddrB] offset:192 // L -> Reg lro=24 swapByteOffset=0 ti=16 vIdx=0 rIdx=0 oIdx=0 buffer=6 iui=0
s_waitcnt lgkmcnt(5)                               // lgkmcnt=0 vmcnt=-1wait for prior local read local write old=0, new=5 newLW=0 newLR=5
v_mfma_f64_16x16x4_f64 a[0+0:7+0], v[vgprValuB_X2_I0+0+0+0:vgprValuB_X2_I0+0+0+0+1], v[vgprValuA_X2_I0+0+0+0:vgprValuA_X2_I0+0+0+0+1], a[0:7]
/*  mfmaIndex:5  */
_ds_load_b128 v[vgprValuA_X6_I0+4:vgprValuA_X6_I0+4+3], v[vgprLocalReadAddrA] offset:480 // L -> Reg lro=24 swapByteOffset=0 ti=128 vIdx=0 rIdx=0 oIdx=0 buffer=6 iui=0
/* localReadsVacancy: latencyLeft 1 */
v_mfma_f64_16x16x4_f64 a[8+0:15+0], v[vgprValuB_X2_I0+0+0+0:vgprValuB_X2_I0+0+0+0+1], v[vgprValuA_X2_I0+4+0+0:vgprValuA_X2_I0+4+0+0+1], a[8:15]
/* numPrefetchIter=0 */
/* dataAtIterA=0 numReadsIterA=3 skipReadsIterA=2 readsPerIterA=2 */
/* dataAtIterB=0 numReadsIterB=3 skipReadsIterB=2 readsPerIterB=1 */


/* iter 3 (last unrolled loop) */

/*  grEndMfmaIndex:0, lwStartMfmaIndex:13, lwEndMfmaIndex:13  */
/*  numMfmaForLR:1, barrierMfmaIndex:14, LocalWritePerMfma:9.000 */
/*  mfmaIndex:6  */
/* localReadsVacancy: latencyLeft 5 */
s_waitcnt lgkmcnt(6)                               // lgkmcnt=0 vmcnt=-1wait for prior local read local write old=0, new=6 newLW=0 newLR=6
v_mfma_f64_16x16x4_f64 a[0+0:7+0], v[vgprValuB_X2_I0+0+2+0:vgprValuB_X2_I0+0+2+0+1], v[vgprValuA_X2_I0+0+2+0:vgprValuA_X2_I0+0+2+0+1], a[0:7]
/*  mfmaIndex:7  */
/* localReadsVacancy: latencyLeft 5 */
v_mfma_f64_16x16x4_f64 a[8+0:15+0], v[vgprValuB_X2_I0+0+2+0:vgprValuB_X2_I0+0+2+0+1], v[vgprValuA_X2_I0+4+2+0:vgprValuA_X2_I0+4+2+0+1], a[8:15]
/* numPrefetchIter=0 */
/* dataAtIterA=0 numReadsIterA=3 skipReadsIterA=2 readsPerIterA=2 */
/* dataAtIterB=0 numReadsIterB=3 skipReadsIterB=2 readsPerIterB=1 */


/* iter 4 (last unrolled loop) */

/*  grEndMfmaIndex:0, lwStartMfmaIndex:13, lwEndMfmaIndex:13  */
/*  numMfmaForLR:1, barrierMfmaIndex:14, LocalWritePerMfma:9.000 */
/*  mfmaIndex:8  */
/* localReadsVacancy: latencyLeft 5 */
s_waitcnt lgkmcnt(3)                               // lgkmcnt=0 vmcnt=-1wait for prior local read local write old=0, new=3 newLW=0 newLR=3
v_mfma_f64_16x16x4_f64 a[0+0:7+0], v[vgprValuB_X4_I0+0+0+0:vgprValuB_X4_I0+0+0+0+1], v[vgprValuA_X4_I0+0+0+0:vgprValuA_X4_I0+0+0+0+1], a[0:7]
/*  mfmaIndex:9  */
/* localReadsVacancy: latencyLeft 5 */
v_mfma_f64_16x16x4_f64 a[8+0:15+0], v[vgprValuB_X4_I0+0+0+0:vgprValuB_X4_I0+0+0+0+1], v[vgprValuA_X4_I0+4+0+0:vgprValuA_X4_I0+4+0+0+1], a[8:15]
/* numPrefetchIter=0 */
/* dataAtIterA=1 numReadsIterA=3 skipReadsIterA=1 readsPerIterA=2 */
/* dataAtIterB=1 numReadsIterB=3 skipReadsIterB=1 readsPerIterB=1 */


/* iter 5 (last unrolled loop) */

/*  grEndMfmaIndex:0, lwStartMfmaIndex:13, lwEndMfmaIndex:13  */
/*  numMfmaForLR:1, barrierMfmaIndex:14, LocalWritePerMfma:9.000 */
/*  mfmaIndex:10  */
/* localReadsVacancy: latencyLeft 5 */
s_waitcnt lgkmcnt(3)                               // lgkmcnt=0 vmcnt=-1wait for prior local read local write old=0, new=3 newLW=0 newLR=3
v_mfma_f64_16x16x4_f64 a[0+0:7+0], v[vgprValuB_X4_I0+0+2+0:vgprValuB_X4_I0+0+2+0+1], v[vgprValuA_X4_I0+0+2+0:vgprValuA_X4_I0+0+2+0+1], a[0:7]
/*  mfmaIndex:11  */
/* localReadsVacancy: latencyLeft 5 */
v_mfma_f64_16x16x4_f64 a[8+0:15+0], v[vgprValuB_X4_I0+0+2+0:vgprValuB_X4_I0+0+2+0+1], v[vgprValuA_X4_I0+4+2+0:vgprValuA_X4_I0+4+2+0+1], a[8:15]
/* numPrefetchIter=0 */
/* dataAtIterA=1 numReadsIterA=3 skipReadsIterA=1 readsPerIterA=2 */
/* dataAtIterB=1 numReadsIterB=3 skipReadsIterB=1 readsPerIterB=1 */


/* iter 6 (last unrolled loop) */

/*  grEndMfmaIndex:0, lwStartMfmaIndex:13, lwEndMfmaIndex:13  */
/*  numMfmaForLR:1, barrierMfmaIndex:14, LocalWritePerMfma:9.000 */
/*  mfmaIndex:12  */
/* localReadsVacancy: latencyLeft 5 */
/* 1 LDS buffer: read-sync-write */
s_waitcnt lgkmcnt(0)                               // 
s_barrier                                          // 
s_waitcnt lgkmcnt(0)                               // lgkmcnt=0 vmcnt=-1wait for prior local read local write old=0, new=0 newLW=0 newLR=0
v_mfma_f64_16x16x4_f64 a[0+0:7+0], v[vgprValuB_X6_I0+0+0+0:vgprValuB_X6_I0+0+0+0+1], v[vgprValuA_X6_I0+0+0+0:vgprValuA_X6_I0+0+0+0+1], a[0:7]
/*  mfmaIndex:13  */
/* localReadsVacancy: latencyLeft 5 */
s_setprio 3                                        // store optimization
v_mfma_f64_16x16x4_f64 a[8+0:15+0], v[vgprValuB_X6_I0+0+0+0:vgprValuB_X6_I0+0+0+0+1], v[vgprValuA_X6_I0+4+0+0:vgprValuA_X6_I0+4+0+0+1], a[8:15]
s_setprio 0                                        // store optimization
/* numPrefetchIter=0 */
/* dataAtIterA=2 numReadsIterA=3 skipReadsIterA=0 readsPerIterA=2 */
/* dataAtIterB=2 numReadsIterB=3 skipReadsIterB=0 readsPerIterB=1 */


/* iter 7 (last unrolled loop) */

/*  grEndMfmaIndex:0, lwStartMfmaIndex:13, lwEndMfmaIndex:13  */
/*  numMfmaForLR:1, barrierMfmaIndex:14, LocalWritePerMfma:9.000 */
/*  mfmaIndex:14  */
v_mfma_f64_16x16x4_f64 a[0+0:7+0], v[vgprValuB_X6_I0+0+2+0:vgprValuB_X6_I0+0+2+0+1], v[vgprValuA_X6_I0+0+2+0:vgprValuA_X6_I0+0+2+0+1], a[0:7]
/*  mfmaIndex:15  */
s_setprio 3                                        // store optimization
v_mfma_f64_16x16x4_f64 a[8+0:15+0], v[vgprValuB_X6_I0+0+2+0:vgprValuB_X6_I0+0+2+0+1], v[vgprValuA_X6_I0+4+2+0:vgprValuA_X6_I0+4+2+0+1], a[8:15]

PrefetchGlobalLastIterEnd_5:


/******************************************/
/* Tail Loop                              */
/******************************************/


/* local write reset offsets a */



/* local write reset offsets b */


	;; [unrolled: 1-line block ×3, first 2 shown]
//numIterL = (((sizeL % LOCAL_DEPTHU) + LOCAL_SPLITU - 1) / LOCAL_SPLITU)
s_and_b32 s[sgprLoopCounterL], 31, s[sgprSizesSum+0] // s[sgprLoopCounterL] = s[sgprSizesSum+0] % 32
s_cmp_lg_u32 s[sgprGSUSumIdx], s[sgprGSUSumIdx+1]  // gsuSumIdx == numIterPerWgRemainder
s_cmov_b32 s[sgprLoopCounterL], 0x0                // numIter=0 if gsuSumIdx!=remainder
s_cmp_eq_u32 s[sgprLoopCounterL], 0x0              // numIterL == 0
s_cbranch_scc1 SkipTailLoopL_8                     // skip to end of tail loop b/c numIter==0
s_mov_b32 s[sgprOrigLoopCounter], 0                // repurpose to count each localRead increment


/* Update M0 for DTLDS */


	;; [unrolled: 1-line block ×3, first 2 shown]
/* global read a */

/* global addressing - max read address = Tensor2dSizeA */
s_mul_hi_u32 s1, s[sgprWorkGroup2], s[sgprStrideAK] // 64b tensorA size in elements
s_mul_i32 s0, s[sgprWorkGroup2], s[sgprStrideAK]   // 64b tensorA size in elements
s_add_u32 s0, s[sgprTensor2dSizeA], s0             // add Tensor2dSizeA
s_addc_u32 s1, s[sgprTensor2dSizeA+1], s1          // add Tensor2dSizeA
s_lshl_b64 s[0:1], s[0:1], 0x3                     // <- tensorA size in bytes
s_add_u32 s0, s28, s0                              // prepend address lower
s_addc_u32 s1, s29, s1                             // prepend address upper
v_mov_b32 v112, s0                                 // sgpr->vgpr
v_mov_b32 v113, s1                                 // sgpr->vgpr
s_mov_b64 s[0:1], 0xFFFFFFFFFFFFFFFF               // to restore all threads active
v_mov_b32 v111, 0x8                                // bpe*numElementsPerLoad
v_mov_b32 v114, 0x0                                // zero
/* g2l=0, load component 0 */
_v_cmpx_lt_u64 vcc, v[vgprGlobalReadAddrA+0:vgprGlobalReadAddrA+0+1], v[112:113] // addr < maxAddr
_global_load_b64 v[vgprG2LA+0+0:vgprG2LA+0+0+1], v[vgprGlobalReadAddrA+0:vgprGlobalReadAddrA+0+1], off, offset:0 // load one global value
s_or_saveexec_b64 vcc, s[0:1]                      // all threads active
_v_add_co_u32 v[vgprGlobalReadAddrA+0+0], vcc, v[vgprGlobalReadAddrA+0+0], v111 // gra += 1 (lower)
_v_addc_co_u32 v[vgprGlobalReadAddrA+0+1], vcc, v[vgprGlobalReadAddrA+0+1], v114, vcc // gra += 1 (upper)
/* g2l=0, load component 1 */
_v_cmpx_lt_u64 vcc, v[vgprGlobalReadAddrA+0:vgprGlobalReadAddrA+0+1], v[112:113] // addr < maxAddr
_global_load_b64 v[vgprG2LA+0+2:vgprG2LA+0+2+1], v[vgprGlobalReadAddrA+0:vgprGlobalReadAddrA+0+1], off, offset:0 // load one global value
s_or_saveexec_b64 vcc, s[0:1]                      // all threads active
_v_add_co_u32 v[vgprGlobalReadAddrA+0+0], vcc, v[vgprGlobalReadAddrA+0+0], v111 // gra += 1 (lower)
_v_addc_co_u32 v[vgprGlobalReadAddrA+0+1], vcc, v[vgprGlobalReadAddrA+0+1], v114, vcc // gra += 1 (upper)
	;; [unrolled: 6-line block ×16, first 2 shown]


/* Update M0 for DTLDS */


	;; [unrolled: 1-line block ×3, first 2 shown]
/* global read b */

/* global addressing - max read address = Tensor2dSizeB */
s_mul_hi_u32 s1, s[sgprWorkGroup2], s[sgprStrideBK] // 64b tensorB size in elements
s_mul_i32 s0, s[sgprWorkGroup2], s[sgprStrideBK]   // 64b tensorB size in elements
s_add_u32 s0, s[sgprTensor2dSizeB], s0             // add Tensor2dSizeB
s_addc_u32 s1, s[sgprTensor2dSizeB+1], s1          // add Tensor2dSizeB
s_lshl_b64 s[0:1], s[0:1], 0x3                     // <- tensorB size in bytes
s_add_u32 s0, s30, s0                              // prepend address lower
s_addc_u32 s1, s31, s1                             // prepend address upper
v_mov_b32 v112, s0                                 // sgpr->vgpr
v_mov_b32 v113, s1                                 // sgpr->vgpr
s_mov_b64 s[0:1], 0xFFFFFFFFFFFFFFFF               // to restore all threads active
v_mov_b32 v111, 0x8                                // bpe*numElementsPerLoad
v_mov_b32 v114, 0x0                                // zero
/* g2l=0, load component 0 */
_v_cmpx_lt_u64 vcc, v[vgprGlobalReadAddrB+0:vgprGlobalReadAddrB+0+1], v[112:113] // addr < maxAddr
_global_load_b64 v[vgprG2LB+0+0:vgprG2LB+0+0+1], v[vgprGlobalReadAddrB+0:vgprGlobalReadAddrB+0+1], off, offset:0 // load one global value
s_or_saveexec_b64 vcc, s[0:1]                      // all threads active
_v_add_co_u32 v[vgprGlobalReadAddrB+0+0], vcc, v[vgprGlobalReadAddrB+0+0], v111 // gra += 1 (lower)
_v_addc_co_u32 v[vgprGlobalReadAddrB+0+1], vcc, v[vgprGlobalReadAddrB+0+1], v114, vcc // gra += 1 (upper)
/* g2l=0, load component 1 */
_v_cmpx_lt_u64 vcc, v[vgprGlobalReadAddrB+0:vgprGlobalReadAddrB+0+1], v[112:113] // addr < maxAddr
_global_load_b64 v[vgprG2LB+0+2:vgprG2LB+0+2+1], v[vgprGlobalReadAddrB+0:vgprGlobalReadAddrB+0+1], off, offset:0 // load one global value
s_or_saveexec_b64 vcc, s[0:1]                      // all threads active
_v_add_co_u32 v[vgprGlobalReadAddrB+0+0], vcc, v[vgprGlobalReadAddrB+0+0], v111 // gra += 1 (lower)
_v_addc_co_u32 v[vgprGlobalReadAddrB+0+1], vcc, v[vgprGlobalReadAddrB+0+1], v114, vcc // gra += 1 (upper)

s_waitcnt vmcnt(0)                                 // lgkmcnt=-1 vmcnt=02wait for global read

// Skip force waitcnt0
s_barrier //


/* Done global A/B reads */


	;; [unrolled: 1-line block ×4, first 2 shown]
/* local write a */

_ds_store_b128 v[vgprLocalWriteAddrA], v[vgprG2LA+0:vgprG2LA+0+3] offset:0 // lwoA_0_0_0_0 = (0*LSCA)*(MT0I+PAD) + (0*LSPA) = 0
_ds_store_b128 v[vgprLocalWriteAddrA], v[vgprG2LA+4:vgprG2LA+4+3] offset:4608 // lwoA_0_0_1_0 = (0*LSCA)*(MT0I+PAD) + (1*LSPA) = 4608
_ds_store_b128 v[vgprLocalWriteAddrA], v[vgprG2LA+8:vgprG2LA+8+3] offset:9216 // lwoA_0_0_2_0 = (0*LSCA)*(MT0I+PAD) + (2*LSPA) = 9216
_ds_store_b128 v[vgprLocalWriteAddrA], v[vgprG2LA+12:vgprG2LA+12+3] offset:13824 // lwoA_0_0_3_0 = (0*LSCA)*(MT0I+PAD) + (3*LSPA) = 13824
_ds_store_b128 v[vgprLocalWriteAddrA], v[vgprG2LA+16:vgprG2LA+16+3] offset:18432 // lwoA_0_0_4_0 = (0*LSCA)*(MT0I+PAD) + (4*LSPA) = 18432
_ds_store_b128 v[vgprLocalWriteAddrA], v[vgprG2LA+20:vgprG2LA+20+3] offset:23040 // lwoA_0_0_5_0 = (0*LSCA)*(MT0I+PAD) + (5*LSPA) = 23040
_ds_store_b128 v[vgprLocalWriteAddrA], v[vgprG2LA+24:vgprG2LA+24+3] offset:27648 // lwoA_0_0_6_0 = (0*LSCA)*(MT0I+PAD) + (6*LSPA) = 27648
_ds_store_b128 v[vgprLocalWriteAddrA], v[vgprG2LA+28:vgprG2LA+28+3] offset:32256 // lwoA_0_0_7_0 = (0*LSCA)*(MT0I+PAD) + (7*LSPA) = 32256


/* local write b */

_ds_store_b128 v[vgprLocalWriteAddrB], v[vgprG2LB+0:vgprG2LB+0+3] offset:0 // lwoB_0_0_0_0 = (0*LSCB)*(MT1J+PAD) + (0*LSPB) = 0


/* Recalc local read offsets */

/*lr0I*/
v_and_b32 v112, 63, v[vgprSerial]                  // 0. thread id in wave: wtid = tid % wavelength(64)
v_and_b32 v111, 15, v112                           // 1. N offset: nIdx = wtid % MI_N(16)
v_lshlrev_b32 v111, 0x5, v111                      // 1. N offset: nOffset = nIdx * nStride(32)
                                                   // 2. block offset: bnIdx = bnIdx % num1DBlocks(1) is 0. do nothing
v_lshlrev_b32 v111, 0x1, v111                      // 4. apply VectorWidth: bnOffset = bnOffset * vw(2)
v_lshrrev_b32 v112, 4, v112                        // 5. K offset: kIdx = wtid / (MIN(16) * MIBB(1))
                                                   // 5. K offset: lrKOffset = kIdx * mStride(1) (multiplier is 1, do nothing)
_v_add_u32 v111, v112, v111                        // 6. offset in wave: lrOffset = bnOffset + lrKOffset
v_lshrrev_b32 v113, 6, v[vgprSerial]               // 7. wave offset in N dimen: wtid = tid / dividedForWaveId(64)
v_and_b32 v112, 3, v113                            // 7. wave offset in M dimen: wtid0 = wtid / num1DWaves(4)
v_lshlrev_b32 v112, 0xa, v112                      // 7. wave offset in M dimen: wOffset = wtid0 * W0Stride(1024)
_v_add_u32 v111, v112, v111                        // 8. final local read offset: flrOffset = lrOffset + WOffset
/*lr1J*/
v_and_b32 v113, 63, v[vgprSerial]                  // 0. thread id in wave: wtid = tid % wavelength(64)
v_and_b32 v112, 15, v113                           // 1. N offset: nIdx = wtid % MI_N(16)
v_lshlrev_b32 v112, 0x5, v112                      // 1. N offset: nOffset = nIdx * nStride(32)
                                                   // 2. block offset: bnIdx = bnIdx % num1DBlocks(1) is 0. do nothing
                                                   // 4. apply VectorWidth: bnOffset = bnOffset * vw(1) (multiplier is 1, do nothing)
v_lshrrev_b32 v113, 4, v113                        // 5. K offset: kIdx = wtid / (MIN(16) * MIBB(1))
                                                   // 5. K offset: lrKOffset = kIdx * mStride(1) (multiplier is 1, do nothing)
_v_add_u32 v112, v113, v112                        // 6. offset in wave: lrOffset = bnOffset + lrKOffset
v_lshlrev_b32 v[vgprLocalReadAddrA], 0x3, v111     // Final Offset: offset = (lro0)*bpe
v_lshrrev_b32 v111, 8, v[vgprLocalReadAddrA]       // Final Offset: padding 4 per block 256
v_lshlrev_b32 v111, 0x5, v111                      // Final Offset: padding 4 per block 256
_v_add_u32 v[vgprLocalReadAddrA], v111, v[vgprLocalReadAddrA] // Final Offset: add padding 4 per block 256
/* N/A */
v_lshlrev_b32 v[vgprLocalReadAddrB], 0x3, v112     // Final Offset: offset = (lro1)*bpe
v_lshrrev_b32 v111, 8, v[vgprLocalReadAddrB]       // Final Offset: padding 4 per block 256
v_lshlrev_b32 v111, 0x5, v111                      // Final Offset: padding 4 per block 256
_v_add_u32 v[vgprLocalReadAddrB], v111, v[vgprLocalReadAddrB] // Final Offset: add padding 4 per block 256
_v_add_co_u32 v[vgprLocalReadAddrB+0], vcc, 0x9000, v[vgprLocalReadAddrB+0] //  += LdsOffsetB (lower)

s_waitcnt lgkmcnt(0)                               // lgkmcnt=0 vmcnt=-15wait for local write

// Skip force waitcnt0
s_barrier //


/* local read reset offsets a */


	;; [unrolled: 1-line block ×3, first 2 shown]
/* local read reset offsets b */


	;; [unrolled: 1-line block ×3, first 2 shown]
/* local read init pointers a */


/* localReadInitPointers */


/* local read init pointers b */


/* localReadInitPointers */


/* tail loop: macs */

TailLoopBeginL_6:


/* tail loop unroll iter 0 */


/* local read a */

_ds_load_b64 v[vgprValuA_X0_I0+0:vgprValuA_X0_I0+0+1], v[vgprLocalReadAddrA] offset:0 // L -> Reg lro=0 swapByteOffset=0 ti=128 vIdx=0 rIdx=0 oIdx=0 buffer=0 iui=0
_ds_load_b64 v[vgprValuA_X0_I0+2:vgprValuA_X0_I0+2+1], v[vgprLocalReadAddrA] offset:288 // L -> Reg lro=0 swapByteOffset=0 ti=128 vIdx=0 rIdx=0 oIdx=0 buffer=0 iui=0


/* local read b */

_ds_load_b64 v[vgprValuB_X0_I0+0:vgprValuB_X0_I0+0+1], v[vgprLocalReadAddrB] offset:0 // L -> Reg lro=0 swapByteOffset=0 ti=16 vIdx=0 rIdx=0 oIdx=0 buffer=0 iui=0


/* local read inc a */

s_mov_b32 s0, 0x20                                 // inc
_v_add_co_u32 v[vgprLocalReadAddrA], vcc, s0, v[vgprLocalReadAddrA] // lrA += 32 (LSU*bpe)


/* local read inc b */

s_mov_b32 s0, 0x20                                 // inc
_v_add_co_u32 v[vgprLocalReadAddrB], vcc, s0, v[vgprLocalReadAddrB] // lrB += 32 (LSU*bpe)

s_waitcnt lgkmcnt(0)                               // lgkmcnt=0 vmcnt=-14wait for local read


	;; [unrolled: 1-line block ×3, first 2 shown]
/* tail loop mfma iter 0: numReadsIterCoalescedA=1, numReadsIterCoalescedB=1 */
v_and_b32 v111, 63, v[vgprSerial]                  // v111 = v[vgprSerial] % 64
v_lshrrev_b32 v111, 4, v111                        // v111 = v111 / 16
                                                   // v111 = v111 * 1 (multiplier is 1, do nothing)
v_cmp_ge_i32 s[24:25], v111, s[sgprLoopCounterL]   // check K index >= Size L
v_cndmask_b32 v[vgprValuA_X0_I0+0+0+0+0], v[vgprValuA_X0_I0+0+0+0+0], 0x0, s[24:25] // set 0 if K_idx >= sizeL
v_cndmask_b32 v[vgprValuA_X0_I0+2+0+0+0], v[vgprValuA_X0_I0+2+0+0+0], 0x0, s[24:25] // set 0 if K_idx >= sizeL
v_cndmask_b32 v[vgprValuB_X0_I0+0+0+0+0], v[vgprValuB_X0_I0+0+0+0+0], 0x0, s[24:25] // set 0 if K_idx >= sizeL
v_cndmask_b32 v[vgprValuA_X0_I0+0+0+0+1], v[vgprValuA_X0_I0+0+0+0+1], 0x0, s[24:25] // set 0 if K_idx >= sizeL
v_cndmask_b32 v[vgprValuA_X0_I0+2+0+0+1], v[vgprValuA_X0_I0+2+0+0+1], 0x0, s[24:25] // set 0 if K_idx >= sizeL
v_cndmask_b32 v[vgprValuB_X0_I0+0+0+0+1], v[vgprValuB_X0_I0+0+0+0+1], 0x0, s[24:25] // set 0 if K_idx >= sizeL
s_nop 1
v_mfma_f64_16x16x4_f64 a[0+0:7+0], v[vgprValuB_X0_I0+0+0+0:vgprValuB_X0_I0+0+0+0+1], v[vgprValuA_X0_I0+0+0+0:vgprValuA_X0_I0+0+0+0+1], a[0:7]
v_mfma_f64_16x16x4_f64 a[8+0:15+0], v[vgprValuB_X0_I0+0+0+0:vgprValuB_X0_I0+0+0+0+1], v[vgprValuA_X0_I0+2+0+0:vgprValuA_X0_I0+2+0+0+1], a[8:15]


/* closeLoop loopL finalLoop=0 tailLoop=1 */
s_sub_i32 s[sgprLoopCounterL], s[sgprLoopCounterL], 0x4 // dec counterL (tailLoop)
s_add_u32 s[sgprOrigLoopCounter], s[sgprOrigLoopCounter], 0x4 // inc counterL
s_cmp_le_i32 s[sgprLoopCounterL], 0x0              // counterL<=0
s_cbranch_scc1 TailLoopEndL_7                      // exit LoopL


/* tail loop unroll iter 1 */


/* local read a */

_ds_load_b64 v[vgprValuA_X1_I0+0:vgprValuA_X1_I0+0+1], v[vgprLocalReadAddrA] offset:0 // L -> Reg lro=0 swapByteOffset=0 ti=128 vIdx=0 rIdx=0 oIdx=0 buffer=1 iui=0
_ds_load_b64 v[vgprValuA_X1_I0+2:vgprValuA_X1_I0+2+1], v[vgprLocalReadAddrA] offset:288 // L -> Reg lro=0 swapByteOffset=0 ti=128 vIdx=0 rIdx=0 oIdx=0 buffer=1 iui=0


/* local read b */

_ds_load_b64 v[vgprValuB_X1_I0+0:vgprValuB_X1_I0+0+1], v[vgprLocalReadAddrB] offset:0 // L -> Reg lro=0 swapByteOffset=0 ti=16 vIdx=0 rIdx=0 oIdx=0 buffer=1 iui=0


/* local read inc a */

s_mov_b32 s0, 0x20                                 // inc
_v_add_co_u32 v[vgprLocalReadAddrA], vcc, s0, v[vgprLocalReadAddrA] // lrA += 32 (LSU*bpe)


/* local read inc b */

s_mov_b32 s0, 0x20                                 // inc
_v_add_co_u32 v[vgprLocalReadAddrB], vcc, s0, v[vgprLocalReadAddrB] // lrB += 32 (LSU*bpe)

s_waitcnt lgkmcnt(0)                               // lgkmcnt=0 vmcnt=-14wait for local read


	;; [unrolled: 1-line block ×3, first 2 shown]
/* tail loop mfma iter 1: numReadsIterCoalescedA=1, numReadsIterCoalescedB=1 */
v_and_b32 v111, 63, v[vgprSerial]                  // v111 = v[vgprSerial] % 64
v_lshrrev_b32 v111, 4, v111                        // v111 = v111 / 16
                                                   // v111 = v111 * 1 (multiplier is 1, do nothing)
v_cmp_ge_i32 s[24:25], v111, s[sgprLoopCounterL]   // check K index >= Size L
v_cndmask_b32 v[vgprValuA_X1_I0+0+0+0+0], v[vgprValuA_X1_I0+0+0+0+0], 0x0, s[24:25] // set 0 if K_idx >= sizeL
v_cndmask_b32 v[vgprValuA_X1_I0+2+0+0+0], v[vgprValuA_X1_I0+2+0+0+0], 0x0, s[24:25] // set 0 if K_idx >= sizeL
v_cndmask_b32 v[vgprValuB_X1_I0+0+0+0+0], v[vgprValuB_X1_I0+0+0+0+0], 0x0, s[24:25] // set 0 if K_idx >= sizeL
v_cndmask_b32 v[vgprValuA_X1_I0+0+0+0+1], v[vgprValuA_X1_I0+0+0+0+1], 0x0, s[24:25] // set 0 if K_idx >= sizeL
v_cndmask_b32 v[vgprValuA_X1_I0+2+0+0+1], v[vgprValuA_X1_I0+2+0+0+1], 0x0, s[24:25] // set 0 if K_idx >= sizeL
v_cndmask_b32 v[vgprValuB_X1_I0+0+0+0+1], v[vgprValuB_X1_I0+0+0+0+1], 0x0, s[24:25] // set 0 if K_idx >= sizeL
s_nop 1
v_mfma_f64_16x16x4_f64 a[0+0:7+0], v[vgprValuB_X1_I0+0+0+0:vgprValuB_X1_I0+0+0+0+1], v[vgprValuA_X1_I0+0+0+0:vgprValuA_X1_I0+0+0+0+1], a[0:7]
v_mfma_f64_16x16x4_f64 a[8+0:15+0], v[vgprValuB_X1_I0+0+0+0:vgprValuB_X1_I0+0+0+0+1], v[vgprValuA_X1_I0+2+0+0:vgprValuA_X1_I0+2+0+0+1], a[8:15]


/* closeLoop loopL finalLoop=0 tailLoop=1 */
s_sub_i32 s[sgprLoopCounterL], s[sgprLoopCounterL], 0x4 // dec counterL (tailLoop)
s_add_u32 s[sgprOrigLoopCounter], s[sgprOrigLoopCounter], 0x4 // inc counterL
s_cmp_le_i32 s[sgprLoopCounterL], 0x0              // counterL<=0
s_cbranch_scc1 TailLoopEndL_7                      // exit LoopL


/* tail loop unroll iter 2 */


/* local read a */

_ds_load_b64 v[vgprValuA_X2_I0+0:vgprValuA_X2_I0+0+1], v[vgprLocalReadAddrA] offset:0 // L -> Reg lro=0 swapByteOffset=0 ti=128 vIdx=0 rIdx=0 oIdx=0 buffer=2 iui=0
_ds_load_b64 v[vgprValuA_X2_I0+2:vgprValuA_X2_I0+2+1], v[vgprLocalReadAddrA] offset:288 // L -> Reg lro=0 swapByteOffset=0 ti=128 vIdx=0 rIdx=0 oIdx=0 buffer=2 iui=0


/* local read b */

_ds_load_b64 v[vgprValuB_X2_I0+0:vgprValuB_X2_I0+0+1], v[vgprLocalReadAddrB] offset:0 // L -> Reg lro=0 swapByteOffset=0 ti=16 vIdx=0 rIdx=0 oIdx=0 buffer=2 iui=0


/* local read inc a */

s_mov_b32 s0, 0x20                                 // inc
_v_add_co_u32 v[vgprLocalReadAddrA], vcc, s0, v[vgprLocalReadAddrA] // lrA += 32 (LSU*bpe)


/* local read inc b */

s_mov_b32 s0, 0x20                                 // inc
_v_add_co_u32 v[vgprLocalReadAddrB], vcc, s0, v[vgprLocalReadAddrB] // lrB += 32 (LSU*bpe)

s_waitcnt lgkmcnt(0)                               // lgkmcnt=0 vmcnt=-14wait for local read


	;; [unrolled: 1-line block ×3, first 2 shown]
/* tail loop mfma iter 2: numReadsIterCoalescedA=1, numReadsIterCoalescedB=1 */
v_and_b32 v111, 63, v[vgprSerial]                  // v111 = v[vgprSerial] % 64
v_lshrrev_b32 v111, 4, v111                        // v111 = v111 / 16
                                                   // v111 = v111 * 1 (multiplier is 1, do nothing)
v_cmp_ge_i32 s[24:25], v111, s[sgprLoopCounterL]   // check K index >= Size L
v_cndmask_b32 v[vgprValuA_X2_I0+0+0+0+0], v[vgprValuA_X2_I0+0+0+0+0], 0x0, s[24:25] // set 0 if K_idx >= sizeL
v_cndmask_b32 v[vgprValuA_X2_I0+2+0+0+0], v[vgprValuA_X2_I0+2+0+0+0], 0x0, s[24:25] // set 0 if K_idx >= sizeL
v_cndmask_b32 v[vgprValuB_X2_I0+0+0+0+0], v[vgprValuB_X2_I0+0+0+0+0], 0x0, s[24:25] // set 0 if K_idx >= sizeL
v_cndmask_b32 v[vgprValuA_X2_I0+0+0+0+1], v[vgprValuA_X2_I0+0+0+0+1], 0x0, s[24:25] // set 0 if K_idx >= sizeL
v_cndmask_b32 v[vgprValuA_X2_I0+2+0+0+1], v[vgprValuA_X2_I0+2+0+0+1], 0x0, s[24:25] // set 0 if K_idx >= sizeL
v_cndmask_b32 v[vgprValuB_X2_I0+0+0+0+1], v[vgprValuB_X2_I0+0+0+0+1], 0x0, s[24:25] // set 0 if K_idx >= sizeL
s_nop 1
v_mfma_f64_16x16x4_f64 a[0+0:7+0], v[vgprValuB_X2_I0+0+0+0:vgprValuB_X2_I0+0+0+0+1], v[vgprValuA_X2_I0+0+0+0:vgprValuA_X2_I0+0+0+0+1], a[0:7]
v_mfma_f64_16x16x4_f64 a[8+0:15+0], v[vgprValuB_X2_I0+0+0+0:vgprValuB_X2_I0+0+0+0+1], v[vgprValuA_X2_I0+2+0+0:vgprValuA_X2_I0+2+0+0+1], a[8:15]


/* closeLoop loopL finalLoop=0 tailLoop=1 */
s_sub_i32 s[sgprLoopCounterL], s[sgprLoopCounterL], 0x4 // dec counterL (tailLoop)
s_add_u32 s[sgprOrigLoopCounter], s[sgprOrigLoopCounter], 0x4 // inc counterL
s_cmp_le_i32 s[sgprLoopCounterL], 0x0              // counterL<=0
s_cbranch_scc1 TailLoopEndL_7                      // exit LoopL


/* tail loop unroll iter 3 */


/* local read a */

_ds_load_b64 v[vgprValuA_X3_I0+0:vgprValuA_X3_I0+0+1], v[vgprLocalReadAddrA] offset:0 // L -> Reg lro=0 swapByteOffset=0 ti=128 vIdx=0 rIdx=0 oIdx=0 buffer=3 iui=0
_ds_load_b64 v[vgprValuA_X3_I0+2:vgprValuA_X3_I0+2+1], v[vgprLocalReadAddrA] offset:288 // L -> Reg lro=0 swapByteOffset=0 ti=128 vIdx=0 rIdx=0 oIdx=0 buffer=3 iui=0


/* local read b */

_ds_load_b64 v[vgprValuB_X3_I0+0:vgprValuB_X3_I0+0+1], v[vgprLocalReadAddrB] offset:0 // L -> Reg lro=0 swapByteOffset=0 ti=16 vIdx=0 rIdx=0 oIdx=0 buffer=3 iui=0


/* local read inc a */

s_mov_b32 s0, 0x20                                 // inc
_v_add_co_u32 v[vgprLocalReadAddrA], vcc, s0, v[vgprLocalReadAddrA] // lrA += 32 (LSU*bpe)


/* local read inc b */

s_mov_b32 s0, 0x20                                 // inc
_v_add_co_u32 v[vgprLocalReadAddrB], vcc, s0, v[vgprLocalReadAddrB] // lrB += 32 (LSU*bpe)

s_waitcnt lgkmcnt(0)                               // lgkmcnt=0 vmcnt=-14wait for local read


	;; [unrolled: 1-line block ×3, first 2 shown]
/* tail loop mfma iter 3: numReadsIterCoalescedA=1, numReadsIterCoalescedB=1 */
v_and_b32 v111, 63, v[vgprSerial]                  // v111 = v[vgprSerial] % 64
v_lshrrev_b32 v111, 4, v111                        // v111 = v111 / 16
                                                   // v111 = v111 * 1 (multiplier is 1, do nothing)
v_cmp_ge_i32 s[24:25], v111, s[sgprLoopCounterL]   // check K index >= Size L
v_cndmask_b32 v[vgprValuA_X3_I0+0+0+0+0], v[vgprValuA_X3_I0+0+0+0+0], 0x0, s[24:25] // set 0 if K_idx >= sizeL
v_cndmask_b32 v[vgprValuA_X3_I0+2+0+0+0], v[vgprValuA_X3_I0+2+0+0+0], 0x0, s[24:25] // set 0 if K_idx >= sizeL
v_cndmask_b32 v[vgprValuB_X3_I0+0+0+0+0], v[vgprValuB_X3_I0+0+0+0+0], 0x0, s[24:25] // set 0 if K_idx >= sizeL
v_cndmask_b32 v[vgprValuA_X3_I0+0+0+0+1], v[vgprValuA_X3_I0+0+0+0+1], 0x0, s[24:25] // set 0 if K_idx >= sizeL
v_cndmask_b32 v[vgprValuA_X3_I0+2+0+0+1], v[vgprValuA_X3_I0+2+0+0+1], 0x0, s[24:25] // set 0 if K_idx >= sizeL
v_cndmask_b32 v[vgprValuB_X3_I0+0+0+0+1], v[vgprValuB_X3_I0+0+0+0+1], 0x0, s[24:25] // set 0 if K_idx >= sizeL
s_nop 1
v_mfma_f64_16x16x4_f64 a[0+0:7+0], v[vgprValuB_X3_I0+0+0+0:vgprValuB_X3_I0+0+0+0+1], v[vgprValuA_X3_I0+0+0+0:vgprValuA_X3_I0+0+0+0+1], a[0:7]
v_mfma_f64_16x16x4_f64 a[8+0:15+0], v[vgprValuB_X3_I0+0+0+0:vgprValuB_X3_I0+0+0+0+1], v[vgprValuA_X3_I0+2+0+0:vgprValuA_X3_I0+2+0+0+1], a[8:15]


/* closeLoop loopL finalLoop=0 tailLoop=1 */
s_sub_i32 s[sgprLoopCounterL], s[sgprLoopCounterL], 0x4 // dec counterL (tailLoop)
s_add_u32 s[sgprOrigLoopCounter], s[sgprOrigLoopCounter], 0x4 // inc counterL
s_cmp_le_i32 s[sgprLoopCounterL], 0x0              // counterL<=0
s_cbranch_scc1 TailLoopEndL_7                      // exit LoopL


/* tail loop unroll iter 4 */


/* local read a */

_ds_load_b64 v[vgprValuA_X4_I0+0:vgprValuA_X4_I0+0+1], v[vgprLocalReadAddrA] offset:0 // L -> Reg lro=0 swapByteOffset=0 ti=128 vIdx=0 rIdx=0 oIdx=0 buffer=4 iui=0
_ds_load_b64 v[vgprValuA_X4_I0+2:vgprValuA_X4_I0+2+1], v[vgprLocalReadAddrA] offset:288 // L -> Reg lro=0 swapByteOffset=0 ti=128 vIdx=0 rIdx=0 oIdx=0 buffer=4 iui=0


/* local read b */

_ds_load_b64 v[vgprValuB_X4_I0+0:vgprValuB_X4_I0+0+1], v[vgprLocalReadAddrB] offset:0 // L -> Reg lro=0 swapByteOffset=0 ti=16 vIdx=0 rIdx=0 oIdx=0 buffer=4 iui=0


/* local read inc a */

s_mov_b32 s0, 0x20                                 // inc
_v_add_co_u32 v[vgprLocalReadAddrA], vcc, s0, v[vgprLocalReadAddrA] // lrA += 32 (LSU*bpe)


/* local read inc b */

s_mov_b32 s0, 0x20                                 // inc
_v_add_co_u32 v[vgprLocalReadAddrB], vcc, s0, v[vgprLocalReadAddrB] // lrB += 32 (LSU*bpe)

s_waitcnt lgkmcnt(0)                               // lgkmcnt=0 vmcnt=-14wait for local read


	;; [unrolled: 1-line block ×3, first 2 shown]
/* tail loop mfma iter 4: numReadsIterCoalescedA=1, numReadsIterCoalescedB=1 */
v_and_b32 v111, 63, v[vgprSerial]                  // v111 = v[vgprSerial] % 64
v_lshrrev_b32 v111, 4, v111                        // v111 = v111 / 16
                                                   // v111 = v111 * 1 (multiplier is 1, do nothing)
v_cmp_ge_i32 s[24:25], v111, s[sgprLoopCounterL]   // check K index >= Size L
v_cndmask_b32 v[vgprValuA_X4_I0+0+0+0+0], v[vgprValuA_X4_I0+0+0+0+0], 0x0, s[24:25] // set 0 if K_idx >= sizeL
v_cndmask_b32 v[vgprValuA_X4_I0+2+0+0+0], v[vgprValuA_X4_I0+2+0+0+0], 0x0, s[24:25] // set 0 if K_idx >= sizeL
v_cndmask_b32 v[vgprValuB_X4_I0+0+0+0+0], v[vgprValuB_X4_I0+0+0+0+0], 0x0, s[24:25] // set 0 if K_idx >= sizeL
v_cndmask_b32 v[vgprValuA_X4_I0+0+0+0+1], v[vgprValuA_X4_I0+0+0+0+1], 0x0, s[24:25] // set 0 if K_idx >= sizeL
v_cndmask_b32 v[vgprValuA_X4_I0+2+0+0+1], v[vgprValuA_X4_I0+2+0+0+1], 0x0, s[24:25] // set 0 if K_idx >= sizeL
v_cndmask_b32 v[vgprValuB_X4_I0+0+0+0+1], v[vgprValuB_X4_I0+0+0+0+1], 0x0, s[24:25] // set 0 if K_idx >= sizeL
s_nop 1
v_mfma_f64_16x16x4_f64 a[0+0:7+0], v[vgprValuB_X4_I0+0+0+0:vgprValuB_X4_I0+0+0+0+1], v[vgprValuA_X4_I0+0+0+0:vgprValuA_X4_I0+0+0+0+1], a[0:7]
v_mfma_f64_16x16x4_f64 a[8+0:15+0], v[vgprValuB_X4_I0+0+0+0:vgprValuB_X4_I0+0+0+0+1], v[vgprValuA_X4_I0+2+0+0:vgprValuA_X4_I0+2+0+0+1], a[8:15]


/* closeLoop loopL finalLoop=0 tailLoop=1 */
s_sub_i32 s[sgprLoopCounterL], s[sgprLoopCounterL], 0x4 // dec counterL (tailLoop)
s_add_u32 s[sgprOrigLoopCounter], s[sgprOrigLoopCounter], 0x4 // inc counterL
s_cmp_le_i32 s[sgprLoopCounterL], 0x0              // counterL<=0
s_cbranch_scc1 TailLoopEndL_7                      // exit LoopL


/* tail loop unroll iter 5 */


/* local read a */

_ds_load_b64 v[vgprValuA_X5_I0+0:vgprValuA_X5_I0+0+1], v[vgprLocalReadAddrA] offset:0 // L -> Reg lro=0 swapByteOffset=0 ti=128 vIdx=0 rIdx=0 oIdx=0 buffer=5 iui=0
_ds_load_b64 v[vgprValuA_X5_I0+2:vgprValuA_X5_I0+2+1], v[vgprLocalReadAddrA] offset:288 // L -> Reg lro=0 swapByteOffset=0 ti=128 vIdx=0 rIdx=0 oIdx=0 buffer=5 iui=0


/* local read b */

_ds_load_b64 v[vgprValuB_X5_I0+0:vgprValuB_X5_I0+0+1], v[vgprLocalReadAddrB] offset:0 // L -> Reg lro=0 swapByteOffset=0 ti=16 vIdx=0 rIdx=0 oIdx=0 buffer=5 iui=0


/* local read inc a */

s_mov_b32 s0, 0x20                                 // inc
_v_add_co_u32 v[vgprLocalReadAddrA], vcc, s0, v[vgprLocalReadAddrA] // lrA += 32 (LSU*bpe)


/* local read inc b */

s_mov_b32 s0, 0x20                                 // inc
_v_add_co_u32 v[vgprLocalReadAddrB], vcc, s0, v[vgprLocalReadAddrB] // lrB += 32 (LSU*bpe)

s_waitcnt lgkmcnt(0)                               // lgkmcnt=0 vmcnt=-14wait for local read


	;; [unrolled: 1-line block ×3, first 2 shown]
/* tail loop mfma iter 5: numReadsIterCoalescedA=1, numReadsIterCoalescedB=1 */
v_and_b32 v111, 63, v[vgprSerial]                  // v111 = v[vgprSerial] % 64
v_lshrrev_b32 v111, 4, v111                        // v111 = v111 / 16
                                                   // v111 = v111 * 1 (multiplier is 1, do nothing)
v_cmp_ge_i32 s[24:25], v111, s[sgprLoopCounterL]   // check K index >= Size L
v_cndmask_b32 v[vgprValuA_X5_I0+0+0+0+0], v[vgprValuA_X5_I0+0+0+0+0], 0x0, s[24:25] // set 0 if K_idx >= sizeL
v_cndmask_b32 v[vgprValuA_X5_I0+2+0+0+0], v[vgprValuA_X5_I0+2+0+0+0], 0x0, s[24:25] // set 0 if K_idx >= sizeL
v_cndmask_b32 v[vgprValuB_X5_I0+0+0+0+0], v[vgprValuB_X5_I0+0+0+0+0], 0x0, s[24:25] // set 0 if K_idx >= sizeL
v_cndmask_b32 v[vgprValuA_X5_I0+0+0+0+1], v[vgprValuA_X5_I0+0+0+0+1], 0x0, s[24:25] // set 0 if K_idx >= sizeL
v_cndmask_b32 v[vgprValuA_X5_I0+2+0+0+1], v[vgprValuA_X5_I0+2+0+0+1], 0x0, s[24:25] // set 0 if K_idx >= sizeL
v_cndmask_b32 v[vgprValuB_X5_I0+0+0+0+1], v[vgprValuB_X5_I0+0+0+0+1], 0x0, s[24:25] // set 0 if K_idx >= sizeL
s_nop 1
v_mfma_f64_16x16x4_f64 a[0+0:7+0], v[vgprValuB_X5_I0+0+0+0:vgprValuB_X5_I0+0+0+0+1], v[vgprValuA_X5_I0+0+0+0:vgprValuA_X5_I0+0+0+0+1], a[0:7]
v_mfma_f64_16x16x4_f64 a[8+0:15+0], v[vgprValuB_X5_I0+0+0+0:vgprValuB_X5_I0+0+0+0+1], v[vgprValuA_X5_I0+2+0+0:vgprValuA_X5_I0+2+0+0+1], a[8:15]


/* closeLoop loopL finalLoop=0 tailLoop=1 */
s_sub_i32 s[sgprLoopCounterL], s[sgprLoopCounterL], 0x4 // dec counterL (tailLoop)
s_add_u32 s[sgprOrigLoopCounter], s[sgprOrigLoopCounter], 0x4 // inc counterL
s_cmp_le_i32 s[sgprLoopCounterL], 0x0              // counterL<=0
s_cbranch_scc1 TailLoopEndL_7                      // exit LoopL


/* tail loop unroll iter 6 */


/* local read a */

_ds_load_b64 v[vgprValuA_X6_I0+0:vgprValuA_X6_I0+0+1], v[vgprLocalReadAddrA] offset:0 // L -> Reg lro=0 swapByteOffset=0 ti=128 vIdx=0 rIdx=0 oIdx=0 buffer=6 iui=0
_ds_load_b64 v[vgprValuA_X6_I0+2:vgprValuA_X6_I0+2+1], v[vgprLocalReadAddrA] offset:288 // L -> Reg lro=0 swapByteOffset=0 ti=128 vIdx=0 rIdx=0 oIdx=0 buffer=6 iui=0


/* local read b */

_ds_load_b64 v[vgprValuB_X6_I0+0:vgprValuB_X6_I0+0+1], v[vgprLocalReadAddrB] offset:0 // L -> Reg lro=0 swapByteOffset=0 ti=16 vIdx=0 rIdx=0 oIdx=0 buffer=6 iui=0


/* local read inc a */

s_mov_b32 s0, 0x20                                 // inc
_v_add_co_u32 v[vgprLocalReadAddrA], vcc, s0, v[vgprLocalReadAddrA] // lrA += 32 (LSU*bpe)


/* local read inc b */

s_mov_b32 s0, 0x20                                 // inc
_v_add_co_u32 v[vgprLocalReadAddrB], vcc, s0, v[vgprLocalReadAddrB] // lrB += 32 (LSU*bpe)

s_waitcnt lgkmcnt(0)                               // lgkmcnt=0 vmcnt=-14wait for local read


	;; [unrolled: 1-line block ×3, first 2 shown]
/* tail loop mfma iter 6: numReadsIterCoalescedA=1, numReadsIterCoalescedB=1 */
v_and_b32 v111, 63, v[vgprSerial]                  // v111 = v[vgprSerial] % 64
v_lshrrev_b32 v111, 4, v111                        // v111 = v111 / 16
                                                   // v111 = v111 * 1 (multiplier is 1, do nothing)
v_cmp_ge_i32 s[24:25], v111, s[sgprLoopCounterL]   // check K index >= Size L
v_cndmask_b32 v[vgprValuA_X6_I0+0+0+0+0], v[vgprValuA_X6_I0+0+0+0+0], 0x0, s[24:25] // set 0 if K_idx >= sizeL
v_cndmask_b32 v[vgprValuA_X6_I0+2+0+0+0], v[vgprValuA_X6_I0+2+0+0+0], 0x0, s[24:25] // set 0 if K_idx >= sizeL
v_cndmask_b32 v[vgprValuB_X6_I0+0+0+0+0], v[vgprValuB_X6_I0+0+0+0+0], 0x0, s[24:25] // set 0 if K_idx >= sizeL
v_cndmask_b32 v[vgprValuA_X6_I0+0+0+0+1], v[vgprValuA_X6_I0+0+0+0+1], 0x0, s[24:25] // set 0 if K_idx >= sizeL
v_cndmask_b32 v[vgprValuA_X6_I0+2+0+0+1], v[vgprValuA_X6_I0+2+0+0+1], 0x0, s[24:25] // set 0 if K_idx >= sizeL
v_cndmask_b32 v[vgprValuB_X6_I0+0+0+0+1], v[vgprValuB_X6_I0+0+0+0+1], 0x0, s[24:25] // set 0 if K_idx >= sizeL
s_nop 1
v_mfma_f64_16x16x4_f64 a[0+0:7+0], v[vgprValuB_X6_I0+0+0+0:vgprValuB_X6_I0+0+0+0+1], v[vgprValuA_X6_I0+0+0+0:vgprValuA_X6_I0+0+0+0+1], a[0:7]
v_mfma_f64_16x16x4_f64 a[8+0:15+0], v[vgprValuB_X6_I0+0+0+0:vgprValuB_X6_I0+0+0+0+1], v[vgprValuA_X6_I0+2+0+0:vgprValuA_X6_I0+2+0+0+1], a[8:15]


/* closeLoop loopL finalLoop=0 tailLoop=1 */
s_sub_i32 s[sgprLoopCounterL], s[sgprLoopCounterL], 0x4 // dec counterL (tailLoop)
s_add_u32 s[sgprOrigLoopCounter], s[sgprOrigLoopCounter], 0x4 // inc counterL
s_cmp_le_i32 s[sgprLoopCounterL], 0x0              // counterL<=0
s_cbranch_scc1 TailLoopEndL_7                      // exit LoopL


/* tail loop unroll iter 7 */


/* local read a */

_ds_load_b64 v[vgprValuA_X7_I0+0:vgprValuA_X7_I0+0+1], v[vgprLocalReadAddrA] offset:0 // L -> Reg lro=0 swapByteOffset=0 ti=128 vIdx=0 rIdx=0 oIdx=0 buffer=7 iui=0
_ds_load_b64 v[vgprValuA_X7_I0+2:vgprValuA_X7_I0+2+1], v[vgprLocalReadAddrA] offset:288 // L -> Reg lro=0 swapByteOffset=0 ti=128 vIdx=0 rIdx=0 oIdx=0 buffer=7 iui=0


/* local read b */

_ds_load_b64 v[vgprValuB_X7_I0+0:vgprValuB_X7_I0+0+1], v[vgprLocalReadAddrB] offset:0 // L -> Reg lro=0 swapByteOffset=0 ti=16 vIdx=0 rIdx=0 oIdx=0 buffer=7 iui=0


/* local read inc a */

s_mov_b32 s0, 0x40                                 // inc
_v_add_co_u32 v[vgprLocalReadAddrA], vcc, s0, v[vgprLocalReadAddrA] // lrA += 64 (LSU*bpe)


/* local read inc b */

s_mov_b32 s0, 0x40                                 // inc
_v_add_co_u32 v[vgprLocalReadAddrB], vcc, s0, v[vgprLocalReadAddrB] // lrB += 64 (LSU*bpe)

s_waitcnt lgkmcnt(0)                               // lgkmcnt=0 vmcnt=-14wait for local read


	;; [unrolled: 1-line block ×3, first 2 shown]
/* tail loop mfma iter 7: numReadsIterCoalescedA=1, numReadsIterCoalescedB=1 */
v_and_b32 v111, 63, v[vgprSerial]                  // v111 = v[vgprSerial] % 64
v_lshrrev_b32 v111, 4, v111                        // v111 = v111 / 16
                                                   // v111 = v111 * 1 (multiplier is 1, do nothing)
v_cmp_ge_i32 s[24:25], v111, s[sgprLoopCounterL]   // check K index >= Size L
v_cndmask_b32 v[vgprValuA_X7_I0+0+0+0+0], v[vgprValuA_X7_I0+0+0+0+0], 0x0, s[24:25] // set 0 if K_idx >= sizeL
v_cndmask_b32 v[vgprValuA_X7_I0+2+0+0+0], v[vgprValuA_X7_I0+2+0+0+0], 0x0, s[24:25] // set 0 if K_idx >= sizeL
v_cndmask_b32 v[vgprValuB_X7_I0+0+0+0+0], v[vgprValuB_X7_I0+0+0+0+0], 0x0, s[24:25] // set 0 if K_idx >= sizeL
v_cndmask_b32 v[vgprValuA_X7_I0+0+0+0+1], v[vgprValuA_X7_I0+0+0+0+1], 0x0, s[24:25] // set 0 if K_idx >= sizeL
v_cndmask_b32 v[vgprValuA_X7_I0+2+0+0+1], v[vgprValuA_X7_I0+2+0+0+1], 0x0, s[24:25] // set 0 if K_idx >= sizeL
v_cndmask_b32 v[vgprValuB_X7_I0+0+0+0+1], v[vgprValuB_X7_I0+0+0+0+1], 0x0, s[24:25] // set 0 if K_idx >= sizeL
s_nop 1
v_mfma_f64_16x16x4_f64 a[0+0:7+0], v[vgprValuB_X7_I0+0+0+0:vgprValuB_X7_I0+0+0+0+1], v[vgprValuA_X7_I0+0+0+0:vgprValuA_X7_I0+0+0+0+1], a[0:7]
v_mfma_f64_16x16x4_f64 a[8+0:15+0], v[vgprValuB_X7_I0+0+0+0:vgprValuB_X7_I0+0+0+0+1], v[vgprValuA_X7_I0+2+0+0:vgprValuA_X7_I0+2+0+0+1], a[8:15]


/* closeLoop loopL finalLoop=1 tailLoop=1 */
s_sub_i32 s[sgprLoopCounterL], s[sgprLoopCounterL], 0x4 // dec counterL (tailLoop)
s_add_u32 s[sgprOrigLoopCounter], s[sgprOrigLoopCounter], 0x4 // inc counterL
s_cmp_le_i32 s[sgprLoopCounterL], 0x0              // counterL<=0
s_cbranch_scc0 TailLoopBeginL_6                    // restart LoopL
TailLoopEndL_7:

SkipTailLoopL_8:

Summation_End_18:
s_setprio 0                                        // optimization store
/* endSummation: add vgpr [0...108) to pool */
.set NumFullBlocks, UNDEF
.set WgmRemainder1, UNDEF
.set MagicNumberWgmRemainder1, UNDEF

/* Mapping of Acc register -> C Vgpr register */


	;; [unrolled: 1-line block ×3, first 2 shown]
/* not-LocalSplitU: global write indices */

/* computeStoreVgprs */
v_lshrrev_b32 v4, 6, v[vgprSerial]                 // v4 = v[vgprSerial] / 64
v_and_b32 v1, 63, v[vgprSerial]                    // v1 = v[vgprSerial] % 64
v_lshrrev_b32 v1, 4, v1                            // v1 = v1 / 16
                                                   // thread0 * continuous_output (multiplier is 1, do nothing)
v_lshrrev_b32 v5, 2, v4                            // v5 = v4 / 4
v_mul_lo_u32 v5, 0x10, v5                          // wave coordination offset 1
_v_add_lshl_u32 v1, v5, v1, 0                      // coordination 1 = vwb *(wave_id1 + tid1)
v_mul_lo_u32 v2, v1, s[sgprStrideC1J]              //  offset 1
v_mul_lo_u32 v3, v1, s[sgprStrideD1J]              //  offset 1
v_and_b32 v5, 3, v4                                // v5 = v4 % 4
v_mul_lo_u32 v5, 0x10, v5                          // wave coordination offset 0
v_and_b32 v0, 15, v[vgprSerial]                    // v0 = v[vgprSerial] % 16
_v_add_lshl_u32 v0, v5, v0, 1                      // coordination 0 = vwa *(wave_id0 + tid0)
s_mul_i32 s0, 128, s[sgprWorkGroup0]               // wgp0 * MT0
_v_add_u32 v0, s0, v0                              // coord 0 = (tid0/MI_m)*4 + waveG0*MIB_m + MT0*SG0
s_mul_i32 s0, 16, s[sgprWorkGroup1]                // wgp1 * MT1
_v_add_u32 v1, s0, v1                              // coord 1 = (tid0%MI_m) + waveG1*MIB_n + MT1*SG1


/* not-LocalSplitU: global write */

s_and_b32 s24, 127, s[sgprSizeI]                   // s24 = s[sgprSizeI] % 128
s_add_u32 s25, -0x1, s[sgprNumWorkGroups0]         // 
s_cmp_ge_u32 s[sgprWorkGroup0], s25                // wg0 >= nwg0-1 ?
s_cselect_b32 s24, s24, 0                          // set rMT0
s_cmpk_gt_u32 s24, 0x0                             // rMT0 > 0
s_cbranch_scc1 GW_B0_E1_24                         // jump if edges required
s_and_b32 s24, 15, s[sgprSizeJ]                    // s24 = s[sgprSizeJ] % 16
s_add_u32 s25, -0x1, s[sgprNumWorkGroups1]         // 
s_cmp_ge_u32 s[sgprWorkGroup1], s25                // wg1 >= nwg1-1
s_cselect_b32 s24, s24, 0                          // set rMT1
s_cmpk_gt_u32 s24, 0x0                             // rMT1 > 0
s_cbranch_scc1 GW_B0_E1_24                         // jump if edges required
GW_B0_E0_21:

/* edge=0, allocate 2 sgpr. perBatchTmpS=2 perBatchMaskS=0 perElementMaskS=0 elementsPerBatch=8 */
/* optSingleColVgpr=1 optSharedColVgpr=0 optSGPRUsage=BufferLoad_Mask optSrdIncForRow=1 */
s_sleep 7 // optimization: sync and wait
s_barrier

/******************************************/
/* Global Write Alpha Batch #0 (d1,d0,vc1,vc0) = */
/*    (0,0,0,0:vw1); (0,0,0,1:vw1); (1,0,0,0:vw1); (1,0,0,1:vw1); (2,0,0,0:vw1); (2,0,0,1:vw1); (3,0,0,0:vw1); (3,0,0,1:vw1) */
/******************************************/

/* calc coords, apply mask, and issue loads (if necessary) */
/* (d1,vc1,d0,vc0)=(0,0,0,0) */
/* (d1,vc1,d0,vc0)=(0,0,0,1) */
	;; [unrolled: 1-line block ×8, first 2 shown]
_v_add_lshl_u32 v6, v3, v0, 0x3                    // optSingleColVgpr scaleToBpe: sharedAddrVgpr <- cinRowPtr + coord0, scaled by BPE. BSHERE:coord0=0, coord0Vgpr=0
v_accvgpr_read_b32 v[vgprValuC+8], acc0 // copy acc to vreg[0]
v_accvgpr_read_b32 v[vgprValuC+9], acc1 // copy acc to vreg[1]
v_accvgpr_read_b32 v[vgprValuC+10], acc8 // copy acc to vreg[2]
v_accvgpr_read_b32 v[vgprValuC+11], acc9 // copy acc to vreg[3]
v_accvgpr_read_b32 v[vgprValuC+12], acc2 // copy acc to vreg[4]
v_accvgpr_read_b32 v[vgprValuC+13], acc3 // copy acc to vreg[5]
v_accvgpr_read_b32 v[vgprValuC+14], acc10 // copy acc to vreg[6]
v_accvgpr_read_b32 v[vgprValuC+15], acc11 // copy acc to vreg[7]
v_accvgpr_read_b32 v[vgprValuC+16], acc4 // copy acc to vreg[8]
v_accvgpr_read_b32 v[vgprValuC+17], acc5 // copy acc to vreg[9]
v_accvgpr_read_b32 v[vgprValuC+18], acc12 // copy acc to vreg[10]
v_accvgpr_read_b32 v[vgprValuC+19], acc13 // copy acc to vreg[11]
v_accvgpr_read_b32 v[vgprValuC+20], acc6 // copy acc to vreg[12]
v_accvgpr_read_b32 v[vgprValuC+21], acc7 // copy acc to vreg[13]
v_accvgpr_read_b32 v[vgprValuC+22], acc14 // copy acc to vreg[14]
v_accvgpr_read_b32 v[vgprValuC+23], acc15 // copy acc to vreg[15]
s_nop 1                                            // 2 wait states required before reading vgpr

/* rC *= alpha batchElements=[(0, 0, 0, 0), (0, 0, 0, 1), (1, 0, 0, 0), (1, 0, 0, 1), (2, 0, 0, 0), (2, 0, 0, 1), (3, 0, 0, 0), (3, 0, 0, 1)] */

/* apply mask, calc new C and issue writes */
_buffer_store_b64 v[8:9], v6, s[sgprSrdD:sgprSrdD+3], 0, offen, offset:0,  sc0 sc1 // store D
_buffer_store_b64 v[10:11], v6, s[sgprSrdD:sgprSrdD+3], 0, offen, offset:8,  sc0 sc1 // store D
s_mul_i32 s0, s[sgprStrideD1J], 32                 // scale StrideD *= numRows(4) * bpe
s_add_u32  s[sgprSrdD+0], s[sgprSrdD+0], s0        // incToNextRow: gra SRD += inc(lower)
s_addc_u32  s[sgprSrdD+1], s[sgprSrdD+1], 0        // incToNextRow: gra SRD += inc(upper)
_buffer_store_b64 v[12:13], v6, s[sgprSrdD:sgprSrdD+3], 0, offen, offset:0,  sc0 sc1 // store D
_buffer_store_b64 v[14:15], v6, s[sgprSrdD:sgprSrdD+3], 0, offen, offset:8,  sc0 sc1 // store D
s_mul_i32 s0, s[sgprStrideD1J], 32                 // scale StrideD *= numRows(4) * bpe
s_add_u32  s[sgprSrdD+0], s[sgprSrdD+0], s0        // incToNextRow: gra SRD += inc(lower)
s_addc_u32  s[sgprSrdD+1], s[sgprSrdD+1], 0        // incToNextRow: gra SRD += inc(upper)
	;; [unrolled: 5-line block ×3, first 2 shown]
_buffer_store_b64 v[20:21], v6, s[sgprSrdD:sgprSrdD+3], 0, offen, offset:0,  sc0 sc1 // store D
_buffer_store_b64 v[22:23], v6, s[sgprSrdD:sgprSrdD+3], 0, offen, offset:8,  sc0 sc1 // store D
s_nop 0                                            // 1 wait state required when next inst writes vgprs held by previous dwordx4 store inst
s_branch label_GW_End_26                           // jump to end
GW_B0_E1_24:

/* edge=1, allocate 6 sgpr. perBatchTmpS=4 perBatchMaskS=2 perElementMaskS=0 elementsPerBatch=8 */
/* optSingleColVgpr=0 optSharedColVgpr=0 optSGPRUsage=BufferLoad_Edge_Mask optSrdIncForRow=0 */
s_sleep 7 // optimization: sync and wait
s_barrier

/******************************************/
/* Global Write Alpha Edge Batch #0 (d1,d0,vc1,vc0) = */
/*    (0,0,0,0:vw1); (0,0,0,1:vw1); (1,0,0,0:vw1); (1,0,0,1:vw1); (2,0,0,0:vw1); (2,0,0,1:vw1); (3,0,0,0:vw1); (3,0,0,1:vw1) */
/******************************************/

/* calc coords, apply mask, and issue loads (if necessary) */
/* (d1,vc1,d0,vc0)=(0,0,0,0) */
v_cmp_lt_u32 s[50:51], v0, s[sgprSizeI]            // coord0 < size0
v_cmp_lt_u32 s[54:55], v1, s[sgprSizeJ]            // coord1 < size1
s_and_b64 s[54:55], s[50:51], s[54:55]             // in0 && in1
_v_add_lshl_u32 v6, v3, v0, 0x3                    // scaleToBpe: accumulate d0 lower and *= bpe into Cin addr
v_cndmask_b32 v6, -1, v6, s[54:55]                 // LDD clip if OOB. offset
/* (d1,vc1,d0,vc0)=(0,0,0,1) */
_v_add_co_u32 v4, vcc, v0, 1                       // coord0.1: coord0 += d0*sg0*VW + vc0
v_cmp_lt_u32 s[50:51], v4, s[sgprSizeI]            // coord0 < size0
v_cmp_lt_u32 s[54:55], v1, s[sgprSizeJ]            // coord1 < size1
s_and_b64 s[54:55], s[50:51], s[54:55]             // in0 && in1
_v_add_lshl_u32 v7, v3, v4, 0x3                    // scaleToBpe: accumulate d0 lower and *= bpe into Cin addr
v_cndmask_b32 v7, -1, v7, s[54:55]                 // LDD clip if OOB. offset
/* (d1,vc1,d0,vc0)=(1,0,0,0) */
_v_add_co_u32 v1, vcc, v1, 4                       // coord1.1: coord1Vgpr += d1*sg1*VW + vc1

/* Fix for UseInitialStridesCD, emitAddressSetupCode */
s_mul_i32 s50, s[sgprStrideC1J], 4                 // scale stride
_v_add_u32 v2, v2, s50                             // ROWINC- Move cinRowPtr to next row
s_mul_i32 s50, s[sgprStrideD1J], 4                 // scale stride
_v_add_u32 v3, v3, s50                             // Move coutRowPtr to next row
v_cmp_lt_u32 s[50:51], v0, s[sgprSizeI]            // coord0 < size0
v_cmp_lt_u32 s[54:55], v1, s[sgprSizeJ]            // coord1 < size1
s_and_b64 s[54:55], s[50:51], s[54:55]             // in0 && in1
_v_add_lshl_u32 v12, v3, v0, 0x3                   // scaleToBpe: accumulate d0 lower and *= bpe into Cin addr
v_cndmask_b32 v12, -1, v12, s[54:55]               // LDD clip if OOB. offset
/* (d1,vc1,d0,vc0)=(1,0,0,1) */
_v_add_co_u32 v4, vcc, v0, 1                       // coord0.1: coord0 += d0*sg0*VW + vc0
v_cmp_lt_u32 s[50:51], v4, s[sgprSizeI]            // coord0 < size0
v_cmp_lt_u32 s[54:55], v1, s[sgprSizeJ]            // coord1 < size1
s_and_b64 s[54:55], s[50:51], s[54:55]             // in0 && in1
_v_add_lshl_u32 v13, v3, v4, 0x3                   // scaleToBpe: accumulate d0 lower and *= bpe into Cin addr
v_cndmask_b32 v13, -1, v13, s[54:55]               // LDD clip if OOB. offset
/* (d1,vc1,d0,vc0)=(2,0,0,0) */
_v_add_co_u32 v1, vcc, v1, 4                       // coord1.1: coord1Vgpr += d1*sg1*VW + vc1

/* Fix for UseInitialStridesCD, emitAddressSetupCode */
s_mul_i32 s50, s[sgprStrideC1J], 4                 // scale stride
_v_add_u32 v2, v2, s50                             // ROWINC- Move cinRowPtr to next row
s_mul_i32 s50, s[sgprStrideD1J], 4                 // scale stride
_v_add_u32 v3, v3, s50                             // Move coutRowPtr to next row
v_cmp_lt_u32 s[50:51], v0, s[sgprSizeI]            // coord0 < size0
v_cmp_lt_u32 s[54:55], v1, s[sgprSizeJ]            // coord1 < size1
s_and_b64 s[54:55], s[50:51], s[54:55]             // in0 && in1
_v_add_lshl_u32 v18, v3, v0, 0x3                   // scaleToBpe: accumulate d0 lower and *= bpe into Cin addr
v_cndmask_b32 v18, -1, v18, s[54:55]               // LDD clip if OOB. offset
/* (d1,vc1,d0,vc0)=(2,0,0,1) */
_v_add_co_u32 v4, vcc, v0, 1                       // coord0.1: coord0 += d0*sg0*VW + vc0
v_cmp_lt_u32 s[50:51], v4, s[sgprSizeI]            // coord0 < size0
v_cmp_lt_u32 s[54:55], v1, s[sgprSizeJ]            // coord1 < size1
s_and_b64 s[54:55], s[50:51], s[54:55]             // in0 && in1
_v_add_lshl_u32 v19, v3, v4, 0x3                   // scaleToBpe: accumulate d0 lower and *= bpe into Cin addr
v_cndmask_b32 v19, -1, v19, s[54:55]               // LDD clip if OOB. offset
	;; [unrolled: 20-line block ×3, first 2 shown]
v_accvgpr_read_b32 v[vgprValuC+8], acc0 // copy acc to vreg[0]
v_accvgpr_read_b32 v[vgprValuC+9], acc1 // copy acc to vreg[1]
v_accvgpr_read_b32 v[vgprValuC+10], acc8 // copy acc to vreg[2]
v_accvgpr_read_b32 v[vgprValuC+11], acc9 // copy acc to vreg[3]
v_accvgpr_read_b32 v[vgprValuC+14], acc2 // copy acc to vreg[4]
v_accvgpr_read_b32 v[vgprValuC+15], acc3 // copy acc to vreg[5]
v_accvgpr_read_b32 v[vgprValuC+16], acc10 // copy acc to vreg[6]
v_accvgpr_read_b32 v[vgprValuC+17], acc11 // copy acc to vreg[7]
v_accvgpr_read_b32 v[vgprValuC+20], acc4 // copy acc to vreg[8]
v_accvgpr_read_b32 v[vgprValuC+21], acc5 // copy acc to vreg[9]
v_accvgpr_read_b32 v[vgprValuC+22], acc12 // copy acc to vreg[10]
v_accvgpr_read_b32 v[vgprValuC+23], acc13 // copy acc to vreg[11]
v_accvgpr_read_b32 v[vgprValuC+26], acc6 // copy acc to vreg[12]
v_accvgpr_read_b32 v[vgprValuC+27], acc7 // copy acc to vreg[13]
v_accvgpr_read_b32 v[vgprValuC+28], acc14 // copy acc to vreg[14]
v_accvgpr_read_b32 v[vgprValuC+29], acc15 // copy acc to vreg[15]
s_nop 1                                            // 2 wait states required before reading vgpr

/* rC *= alpha batchElements=[(0, 0, 0, 0), (0, 0, 0, 1), (1, 0, 0, 0), (1, 0, 0, 1), (2, 0, 0, 0), (2, 0, 0, 1), (3, 0, 0, 0), (3, 0, 0, 1)] */

/* apply mask, calc new C and issue writes */
_buffer_store_b64 v[8:9], v6, s[sgprSrdD:sgprSrdD+3], 0, offen, offset:0,  sc0 sc1 // store D
_buffer_store_b64 v[10:11], v7, s[sgprSrdD:sgprSrdD+3], 0, offen, offset:0,  sc0 sc1 // store D
	;; [unrolled: 1-line block ×8, first 2 shown]
s_nop 0                                            // 1 wait state required when next inst writes vgprs held by previous dwordx4 store inst
s_branch label_GW_End_26                           // jump to end
label_GW_End_26:

label_0031:  /// KernelEnd
s_endpgm                                           // Kernel End

